;; amdgpu-corpus repo=ROCm/rocFFT kind=compiled arch=gfx906 opt=O3
	.text
	.amdgcn_target "amdgcn-amd-amdhsa--gfx906"
	.amdhsa_code_object_version 6
	.protected	bluestein_single_fwd_len756_dim1_sp_op_CI_CI ; -- Begin function bluestein_single_fwd_len756_dim1_sp_op_CI_CI
	.globl	bluestein_single_fwd_len756_dim1_sp_op_CI_CI
	.p2align	8
	.type	bluestein_single_fwd_len756_dim1_sp_op_CI_CI,@function
bluestein_single_fwd_len756_dim1_sp_op_CI_CI: ; @bluestein_single_fwd_len756_dim1_sp_op_CI_CI
; %bb.0:
	s_load_dwordx4 s[8:11], s[4:5], 0x28
	v_mul_u32_u24_e32 v1, 0x411, v0
	v_add_u32_sdwa v110, s6, v1 dst_sel:DWORD dst_unused:UNUSED_PAD src0_sel:DWORD src1_sel:WORD_1
	v_mov_b32_e32 v111, 0
	s_waitcnt lgkmcnt(0)
	v_cmp_gt_u64_e32 vcc, s[8:9], v[110:111]
	s_and_saveexec_b64 s[0:1], vcc
	s_cbranch_execz .LBB0_10
; %bb.1:
	s_load_dwordx4 s[0:3], s[4:5], 0x18
	s_load_dwordx4 s[12:15], s[4:5], 0x0
	v_mov_b32_e32 v2, 63
	v_mul_lo_u16_sdwa v1, v1, v2 dst_sel:DWORD dst_unused:UNUSED_PAD src0_sel:WORD_1 src1_sel:DWORD
	v_sub_u16_e32 v134, v0, v1
	s_waitcnt lgkmcnt(0)
	s_load_dwordx4 s[16:19], s[0:1], 0x0
	v_lshlrev_b32_e32 v133, 3, v134
	global_load_dwordx2 v[121:122], v133, s[12:13]
	global_load_dwordx2 v[115:116], v133, s[12:13] offset:504
	s_movk_i32 s8, 0x1000
	v_add_u32_e32 v49, 0x800, v133
	s_waitcnt lgkmcnt(0)
	v_mad_u64_u32 v[0:1], s[0:1], s18, v110, 0
	v_mad_u64_u32 v[2:3], s[0:1], s16, v134, 0
	s_mul_hi_u32 s7, s16, 0xfffff628
	s_mul_i32 s6, s17, 0xfffff628
	v_mad_u64_u32 v[4:5], s[0:1], s19, v110, v[1:2]
	s_sub_i32 s7, s7, s16
	s_add_i32 s6, s7, s6
	v_mad_u64_u32 v[5:6], s[0:1], s17, v134, v[3:4]
	v_mov_b32_e32 v1, v4
	v_lshlrev_b64 v[0:1], 3, v[0:1]
	v_mov_b32_e32 v6, s11
	v_mov_b32_e32 v3, v5
	v_add_co_u32_e32 v4, vcc, s10, v0
	v_addc_co_u32_e32 v5, vcc, v6, v1, vcc
	v_lshlrev_b64 v[0:1], 3, v[2:3]
	v_mov_b32_e32 v2, s13
	v_add_co_u32_e32 v0, vcc, v4, v0
	v_addc_co_u32_e32 v1, vcc, v5, v1, vcc
	v_add_co_u32_e32 v18, vcc, s12, v133
	s_mul_i32 s0, s17, 0xbd0
	s_mul_hi_u32 s1, s16, 0xbd0
	v_addc_co_u32_e32 v19, vcc, 0, v2, vcc
	s_add_i32 s0, s1, s0
	s_mul_i32 s1, s16, 0xbd0
	v_mov_b32_e32 v3, s0
	v_add_co_u32_e32 v2, vcc, s1, v0
	v_addc_co_u32_e32 v3, vcc, v1, v3, vcc
	s_mul_i32 s7, s16, 0xfffff628
	v_mov_b32_e32 v5, s6
	v_add_co_u32_e32 v4, vcc, s7, v2
	v_addc_co_u32_e32 v5, vcc, v3, v5, vcc
	v_mov_b32_e32 v7, s0
	v_add_co_u32_e32 v6, vcc, s1, v4
	v_addc_co_u32_e32 v7, vcc, v5, v7, vcc
	global_load_dwordx2 v[8:9], v[0:1], off
	global_load_dwordx2 v[10:11], v[2:3], off
	;; [unrolled: 1-line block ×4, first 2 shown]
	global_load_dwordx2 v[119:120], v133, s[12:13] offset:3024
	global_load_dwordx2 v[113:114], v133, s[12:13] offset:3528
	v_mov_b32_e32 v1, s6
	v_add_co_u32_e32 v0, vcc, s7, v6
	v_addc_co_u32_e32 v1, vcc, v7, v1, vcc
	global_load_dwordx2 v[2:3], v[0:1], off
	v_mov_b32_e32 v4, s0
	v_add_co_u32_e32 v0, vcc, s1, v0
	v_addc_co_u32_e32 v1, vcc, v1, v4, vcc
	global_load_dwordx2 v[4:5], v[0:1], off
	global_load_dwordx2 v[111:112], v133, s[12:13] offset:4032
	v_mov_b32_e32 v6, s6
	v_add_co_u32_e32 v0, vcc, s7, v0
	v_addc_co_u32_e32 v1, vcc, v1, v6, vcc
	global_load_dwordx2 v[6:7], v[0:1], off
	global_load_dwordx2 v[117:118], v133, s[12:13] offset:1008
	global_load_dwordx2 v[108:109], v133, s[12:13] offset:1512
	v_mov_b32_e32 v16, s0
	v_add_co_u32_e32 v0, vcc, s1, v0
	v_addc_co_u32_e32 v1, vcc, v1, v16, vcc
	v_add_co_u32_e32 v18, vcc, s8, v18
	v_addc_co_u32_e32 v19, vcc, 0, v19, vcc
	global_load_dwordx2 v[16:17], v[0:1], off
	v_mov_b32_e32 v20, s6
	v_add_co_u32_e32 v0, vcc, s7, v0
	v_addc_co_u32_e32 v1, vcc, v1, v20, vcc
	global_load_dwordx2 v[106:107], v[18:19], off offset:440
	global_load_dwordx2 v[20:21], v[0:1], off
	global_load_dwordx2 v[104:105], v133, s[12:13] offset:2016
	v_mov_b32_e32 v22, s0
	v_add_co_u32_e32 v0, vcc, s1, v0
	v_addc_co_u32_e32 v1, vcc, v1, v22, vcc
	global_load_dwordx2 v[22:23], v[0:1], off
	global_load_dwordx2 v[102:103], v[18:19], off offset:944
	v_mov_b32_e32 v24, s6
	v_add_co_u32_e32 v0, vcc, s7, v0
	v_addc_co_u32_e32 v1, vcc, v1, v24, vcc
	global_load_dwordx2 v[24:25], v[0:1], off
	global_load_dwordx2 v[100:101], v133, s[12:13] offset:2520
	v_mov_b32_e32 v26, s0
	v_add_co_u32_e32 v0, vcc, s1, v0
	v_addc_co_u32_e32 v1, vcc, v1, v26, vcc
	global_load_dwordx2 v[26:27], v[0:1], off
	global_load_dwordx2 v[98:99], v[18:19], off offset:1448
	v_add_u32_e32 v50, 0x1000, v133
	v_add_u32_e32 v151, 0x400, v133
	s_load_dwordx4 s[8:11], s[2:3], 0x0
	v_add_u32_e32 v152, 0xc00, v133
	s_movk_i32 s0, 0x7e
	v_add_co_u32_e32 v40, vcc, s0, v134
	s_movk_i32 s0, 0xbd
	v_add_co_u32_e32 v48, vcc, 63, v134
	v_add_co_u32_e32 v44, vcc, s0, v134
	v_lshlrev_b32_e32 v32, 1, v134
	v_lshlrev_b32_e32 v135, 4, v134
	;; [unrolled: 1-line block ×5, first 2 shown]
	v_add_u32_e32 v158, 0x13b, v134
	s_movk_i32 s0, 0x7c
	v_add_u32_e32 v162, 0x1f8, v32
	s_load_dwordx2 s[2:3], s[4:5], 0x38
	s_waitcnt vmcnt(21)
	v_mul_f32_e32 v0, v9, v122
	v_mul_f32_e32 v1, v8, v122
	v_fmac_f32_e32 v0, v8, v121
	v_fma_f32 v1, v9, v121, -v1
	s_waitcnt vmcnt(17)
	v_mul_f32_e32 v8, v11, v120
	v_mul_f32_e32 v9, v10, v120
	v_fmac_f32_e32 v8, v10, v119
	v_fma_f32 v9, v11, v119, -v9
	ds_write_b64 v133, v[8:9] offset:3024
	v_mul_f32_e32 v8, v13, v116
	v_mul_f32_e32 v9, v12, v116
	v_fmac_f32_e32 v8, v12, v115
	v_fma_f32 v9, v13, v115, -v9
	ds_write2_b64 v133, v[0:1], v[8:9] offset1:63
	s_waitcnt vmcnt(16)
	v_mul_f32_e32 v0, v15, v114
	v_mul_f32_e32 v1, v14, v114
	v_fmac_f32_e32 v0, v14, v113
	v_fma_f32 v1, v15, v113, -v1
                                        ; implicit-def: $vgpr131
                                        ; implicit-def: $vgpr96
	s_waitcnt vmcnt(11)
	v_mul_f32_e32 v8, v3, v118
	v_fmac_f32_e32 v8, v2, v117
	v_mul_f32_e32 v2, v2, v118
	v_fma_f32 v9, v3, v117, -v2
	v_mul_f32_e32 v2, v5, v112
	v_mul_f32_e32 v3, v4, v112
	v_fmac_f32_e32 v2, v4, v111
	v_fma_f32 v3, v5, v111, -v3
	ds_write2_b64 v49, v[0:1], v[2:3] offset0:185 offset1:248
	s_waitcnt vmcnt(10)
	v_mul_f32_e32 v0, v7, v109
	v_mul_f32_e32 v1, v6, v109
	v_fmac_f32_e32 v0, v6, v108
	v_fma_f32 v1, v7, v108, -v1
	ds_write2_b64 v133, v[8:9], v[0:1] offset0:126 offset1:189
	s_waitcnt vmcnt(8)
	v_mul_f32_e32 v0, v17, v107
	v_mul_f32_e32 v1, v16, v107
	v_fmac_f32_e32 v0, v16, v106
	v_fma_f32 v1, v17, v106, -v1
	s_waitcnt vmcnt(6)
	v_mul_f32_e32 v2, v21, v105
	v_mul_f32_e32 v3, v20, v105
	v_fmac_f32_e32 v2, v20, v104
	s_waitcnt vmcnt(4)
	v_mul_f32_e32 v4, v23, v103
	v_mul_f32_e32 v5, v22, v103
	v_fmac_f32_e32 v4, v22, v102
	v_fma_f32 v5, v23, v102, -v5
	ds_write2_b64 v50, v[0:1], v[4:5] offset0:55 offset1:118
	v_fma_f32 v3, v21, v104, -v3
	s_waitcnt vmcnt(2)
	v_mul_f32_e32 v0, v25, v101
	v_mul_f32_e32 v1, v24, v101
	v_fmac_f32_e32 v0, v24, v100
	v_fma_f32 v1, v25, v100, -v1
	ds_write2_b64 v151, v[2:3], v[0:1] offset0:124 offset1:187
	s_waitcnt vmcnt(0)
	v_mul_f32_e32 v0, v27, v99
	v_mul_f32_e32 v1, v26, v99
	v_fmac_f32_e32 v0, v26, v98
	v_fma_f32 v1, v27, v98, -v1
	ds_write_b64 v133, v[0:1] offset:5544
	s_waitcnt lgkmcnt(0)
	; wave barrier
	s_waitcnt lgkmcnt(0)
	ds_read2_b64 v[0:3], v133 offset1:63
	ds_read2_b64 v[4:7], v49 offset0:122 offset1:185
	ds_read2_b64 v[8:11], v133 offset0:126 offset1:189
	;; [unrolled: 1-line block ×5, first 2 shown]
	s_waitcnt lgkmcnt(0)
	; wave barrier
	s_waitcnt lgkmcnt(0)
	v_sub_f32_e32 v26, v0, v4
	v_sub_f32_e32 v27, v1, v5
	;; [unrolled: 1-line block ×4, first 2 shown]
	v_fma_f32 v24, v0, 2.0, -v26
	v_fma_f32 v25, v1, 2.0, -v27
	v_sub_f32_e32 v4, v2, v6
	v_sub_f32_e32 v5, v3, v7
	v_fma_f32 v28, v8, 2.0, -v30
	v_fma_f32 v29, v9, 2.0, -v31
	v_sub_f32_e32 v8, v10, v14
	v_sub_f32_e32 v9, v11, v15
	;; [unrolled: 1-line block ×4, first 2 shown]
	v_fma_f32 v2, v2, 2.0, -v4
	v_fma_f32 v3, v3, 2.0, -v5
	v_fma_f32 v6, v10, 2.0, -v8
	v_fma_f32 v7, v11, 2.0, -v9
	v_fma_f32 v10, v16, 2.0, -v12
	v_fma_f32 v11, v17, 2.0, -v13
	v_sub_f32_e32 v16, v18, v22
	v_sub_f32_e32 v17, v19, v23
	ds_write_b128 v135, v[24:27]
	v_lshlrev_b32_e32 v0, 3, v32
	v_and_b32_e32 v24, 1, v134
	v_fma_f32 v14, v18, 2.0, -v16
	v_fma_f32 v15, v19, 2.0, -v17
	ds_write_b128 v136, v[2:5]
	ds_write_b128 v137, v[28:31]
	ds_write_b128 v138, v[6:9]
	ds_write_b128 v0, v[10:13] offset:4032
	ds_write_b128 v135, v[14:17] offset:5040
	v_lshlrev_b32_e32 v0, 3, v24
	s_waitcnt lgkmcnt(0)
	; wave barrier
	s_waitcnt lgkmcnt(0)
	global_load_dwordx2 v[123:124], v0, s[14:15]
	v_and_b32_e32 v26, 1, v158
	v_and_b32_e32 v25, 1, v48
	v_lshlrev_b32_e32 v1, 3, v26
	v_lshlrev_b32_e32 v0, 3, v25
	global_load_dword v139, v1, s[14:15] offset:4
	global_load_dwordx2 v[125:126], v1, s[14:15]
	global_load_dword v140, v0, s[14:15]
	v_and_b32_e32 v27, 1, v44
	v_lshlrev_b32_e32 v0, 3, v27
	global_load_dwordx2 v[127:128], v0, s[14:15]
	ds_read2_b64 v[0:3], v49 offset0:122 offset1:185
	ds_read2_b64 v[4:7], v133 offset1:63
	ds_read2_b64 v[8:11], v133 offset0:126 offset1:189
	ds_read2_b64 v[12:15], v152 offset0:120 offset1:183
	;; [unrolled: 1-line block ×3, first 2 shown]
	s_waitcnt vmcnt(4) lgkmcnt(4)
	v_mul_f32_e32 v20, v1, v124
	v_fma_f32 v20, v0, v123, -v20
	v_mul_f32_e32 v0, v0, v124
	v_fmac_f32_e32 v0, v1, v123
	s_waitcnt vmcnt(2)
	v_mul_f32_e32 v1, v3, v126
	s_waitcnt vmcnt(1)
	v_fma_f32 v1, v2, v140, -v1
	v_mul_f32_e32 v2, v2, v126
	v_fmac_f32_e32 v2, v3, v140
	s_waitcnt lgkmcnt(1)
	v_mul_f32_e32 v3, v13, v124
	v_fma_f32 v3, v12, v123, -v3
	v_mul_f32_e32 v21, v12, v124
	s_waitcnt vmcnt(0)
	v_mul_f32_e32 v12, v15, v128
	v_fma_f32 v22, v14, v127, -v12
	v_mul_f32_e32 v23, v14, v128
	s_waitcnt lgkmcnt(0)
	v_mul_f32_e32 v12, v17, v124
	v_fmac_f32_e32 v21, v13, v123
	v_fmac_f32_e32 v23, v15, v127
	v_fma_f32 v28, v16, v123, -v12
	v_mul_f32_e32 v29, v16, v124
	v_sub_f32_e32 v13, v5, v0
	v_sub_f32_e32 v14, v6, v1
	;; [unrolled: 1-line block ×4, first 2 shown]
	ds_read2_b64 v[0:3], v151 offset0:124 offset1:187
	v_mul_f32_e32 v12, v19, v139
	v_fma_f32 v30, v18, v125, -v12
	v_mul_f32_e32 v31, v18, v139
	v_sub_f32_e32 v12, v4, v20
	v_sub_f32_e32 v18, v10, v22
	s_waitcnt lgkmcnt(0)
	v_sub_f32_e32 v22, v2, v30
	v_and_or_b32 v30, v32, s0, v24
	v_fma_f32 v4, v4, 2.0, -v12
	v_fma_f32 v5, v5, 2.0, -v13
	v_sub_f32_e32 v20, v0, v28
	v_lshlrev_b32_e32 v28, 1, v48
	v_lshlrev_b32_e32 v141, 3, v30
	s_movk_i32 s0, 0xfc
	v_fmac_f32_e32 v29, v17, v123
	s_waitcnt lgkmcnt(0)
	; wave barrier
	ds_write2_b64 v141, v[4:5], v[12:13] offset1:2
	v_and_or_b32 v12, v28, s0, v25
	v_fma_f32 v6, v6, 2.0, -v14
	v_fma_f32 v7, v7, 2.0, -v15
	v_sub_f32_e32 v17, v9, v21
	v_sub_f32_e32 v21, v1, v29
	v_lshlrev_b32_e32 v29, 1, v40
	v_lshlrev_b32_e32 v4, 1, v44
	;; [unrolled: 1-line block ×3, first 2 shown]
	s_movk_i32 s0, 0x1fc
	ds_write2_b64 v142, v[6:7], v[14:15] offset1:2
	v_and_or_b32 v6, v29, s0, v24
	v_and_or_b32 v4, v4, s0, v27
	s_movk_i32 s0, 0x3fc
	v_fmac_f32_e32 v31, v19, v125
	v_sub_f32_e32 v19, v11, v23
	v_lshlrev_b32_e32 v144, 3, v4
	v_and_or_b32 v4, v162, s0, v24
	v_fma_f32 v8, v8, 2.0, -v16
	v_fma_f32 v9, v9, 2.0, -v17
	;; [unrolled: 1-line block ×6, first 2 shown]
	v_lshlrev_b32_e32 v5, 1, v158
	v_lshlrev_b32_e32 v143, 3, v6
	;; [unrolled: 1-line block ×3, first 2 shown]
	s_movk_i32 s0, 0x2fc
	v_sub_f32_e32 v23, v3, v31
	ds_write2_b64 v143, v[8:9], v[16:17] offset1:2
	ds_write2_b64 v144, v[10:11], v[18:19] offset1:2
	;; [unrolled: 1-line block ×3, first 2 shown]
	v_and_or_b32 v0, v5, s0, v26
	v_and_b32_e32 v26, 3, v134
	v_fma_f32 v2, v2, 2.0, -v22
	v_fma_f32 v3, v3, 2.0, -v23
	v_lshlrev_b32_e32 v146, 3, v0
	v_lshlrev_b32_e32 v0, 4, v26
	ds_write2_b64 v146, v[2:3], v[22:23] offset1:2
	s_waitcnt lgkmcnt(0)
	; wave barrier
	s_waitcnt lgkmcnt(0)
	global_load_dwordx4 v[0:3], v0, s[14:15] offset:16
	v_and_b32_e32 v28, 3, v48
	v_lshlrev_b32_e32 v4, 4, v28
	global_load_dwordx4 v[4:7], v4, s[14:15] offset:16
	v_and_b32_e32 v29, 3, v40
	v_lshlrev_b32_e32 v8, 4, v29
	;; [unrolled: 3-line block ×3, first 2 shown]
	global_load_dwordx4 v[12:15], v12, s[14:15] offset:16
	ds_read2_b64 v[16:19], v151 offset0:124 offset1:187
	ds_read2_b64 v[20:23], v152 offset0:120 offset1:183
	s_movk_i32 s0, 0xab
	s_waitcnt vmcnt(3) lgkmcnt(1)
	v_mul_f32_e32 v24, v17, v1
	v_fma_f32 v27, v16, v0, -v24
	v_mul_f32_e32 v31, v16, v1
	s_waitcnt lgkmcnt(0)
	v_mul_f32_e32 v16, v21, v3
	v_fma_f32 v32, v20, v2, -v16
	s_waitcnt vmcnt(2)
	v_mul_f32_e32 v16, v19, v5
	v_mul_f32_e32 v35, v18, v5
	v_fmac_f32_e32 v31, v17, v0
	v_fma_f32 v34, v18, v4, -v16
	v_fmac_f32_e32 v35, v19, v4
	ds_read2_b64 v[16:19], v49 offset0:122 offset1:185
	v_mul_f32_e32 v33, v20, v3
	v_mul_f32_e32 v20, v23, v7
	v_fma_f32 v36, v22, v6, -v20
	v_mul_f32_e32 v37, v22, v7
	s_waitcnt vmcnt(1) lgkmcnt(0)
	v_mul_f32_e32 v20, v17, v9
	v_fmac_f32_e32 v33, v21, v2
	v_fmac_f32_e32 v37, v23, v6
	v_fma_f32 v38, v16, v8, -v20
	ds_read2_b64 v[20:23], v50 offset0:118 offset1:181
	v_mul_f32_e32 v39, v16, v9
	s_waitcnt vmcnt(0)
	v_mul_f32_e32 v16, v19, v13
	v_fma_f32 v41, v18, v12, -v16
	v_mul_f32_e32 v42, v18, v13
	s_waitcnt lgkmcnt(0)
	v_mul_f32_e32 v16, v21, v11
	v_fmac_f32_e32 v39, v17, v8
	v_fmac_f32_e32 v42, v19, v12
	v_fma_f32 v43, v20, v10, -v16
	ds_read2_b64 v[16:19], v133 offset1:63
	v_mul_f32_e32 v45, v20, v11
	v_mul_f32_e32 v20, v23, v15
	v_fma_f32 v46, v22, v14, -v20
	v_fmac_f32_e32 v45, v21, v10
	s_waitcnt lgkmcnt(0)
	v_add_f32_e32 v20, v16, v27
	v_add_f32_e32 v24, v20, v32
	;; [unrolled: 1-line block ×6, first 2 shown]
	v_fma_f32 v17, -0.5, v20, v17
	v_lshrrev_b32_e32 v20, 2, v134
	v_fma_f32 v16, -0.5, v21, v16
	v_mul_u32_u24_e32 v20, 12, v20
	v_sub_f32_e32 v51, v31, v33
	v_sub_f32_e32 v31, v27, v32
	v_or_b32_e32 v32, v20, v26
	v_mov_b32_e32 v26, v16
	v_mov_b32_e32 v27, v17
	v_mul_f32_e32 v47, v22, v15
	v_fmac_f32_e32 v26, 0x3f5db3d7, v51
	v_fmac_f32_e32 v27, 0xbf5db3d7, v31
	v_lshlrev_b32_e32 v147, 3, v32
	v_fmac_f32_e32 v16, 0xbf5db3d7, v51
	v_fmac_f32_e32 v17, 0x3f5db3d7, v31
	;; [unrolled: 1-line block ×3, first 2 shown]
	ds_read2_b64 v[20:23], v133 offset0:126 offset1:189
	s_waitcnt lgkmcnt(0)
	; wave barrier
	s_waitcnt lgkmcnt(0)
	ds_write2_b64 v147, v[24:25], v[26:27] offset1:4
	ds_write_b64 v147, v[16:17] offset:64
	v_add_f32_e32 v17, v34, v36
	v_add_f32_e32 v24, v35, v37
	;; [unrolled: 1-line block ×3, first 2 shown]
	v_fma_f32 v18, -0.5, v17, v18
	v_add_f32_e32 v17, v19, v35
	v_fmac_f32_e32 v19, -0.5, v24
	v_lshrrev_b32_e32 v24, 2, v48
	v_mul_u32_u24_e32 v24, 12, v24
	v_sub_f32_e32 v26, v35, v37
	v_sub_f32_e32 v27, v34, v36
	v_or_b32_e32 v28, v24, v28
	v_mov_b32_e32 v24, v18
	v_mov_b32_e32 v25, v19
	v_lshlrev_b32_e32 v148, 3, v28
	v_fmac_f32_e32 v18, 0xbf5db3d7, v26
	v_fmac_f32_e32 v19, 0x3f5db3d7, v27
	v_add_f32_e32 v16, v16, v36
	v_add_f32_e32 v17, v17, v37
	v_fmac_f32_e32 v24, 0x3f5db3d7, v26
	v_fmac_f32_e32 v25, 0xbf5db3d7, v27
	ds_write_b64 v148, v[18:19] offset:64
	v_add_f32_e32 v18, v38, v43
	ds_write2_b64 v148, v[16:17], v[24:25] offset1:4
	v_add_f32_e32 v16, v20, v38
	v_add_f32_e32 v19, v39, v45
	v_fma_f32 v18, -0.5, v18, v20
	v_lshrrev_b32_e32 v20, 2, v40
	v_fma_f32 v19, -0.5, v19, v21
	v_mul_u32_u24_e32 v20, 12, v20
	v_add_f32_e32 v17, v21, v39
	v_sub_f32_e32 v24, v39, v45
	v_sub_f32_e32 v25, v38, v43
	v_or_b32_e32 v26, v20, v29
	v_mov_b32_e32 v20, v18
	v_mov_b32_e32 v21, v19
	v_add_f32_e32 v16, v16, v43
	v_add_f32_e32 v17, v17, v45
	v_fmac_f32_e32 v20, 0x3f5db3d7, v24
	v_fmac_f32_e32 v21, 0xbf5db3d7, v25
	v_lshlrev_b32_e32 v149, 3, v26
	v_fmac_f32_e32 v18, 0xbf5db3d7, v24
	v_fmac_f32_e32 v19, 0x3f5db3d7, v25
	ds_write2_b64 v149, v[16:17], v[20:21] offset1:4
	ds_write_b64 v149, v[18:19] offset:64
	v_add_f32_e32 v17, v41, v46
	v_add_f32_e32 v18, v42, v47
	;; [unrolled: 1-line block ×3, first 2 shown]
	v_fma_f32 v22, -0.5, v17, v22
	v_add_f32_e32 v17, v23, v42
	v_fmac_f32_e32 v23, -0.5, v18
	v_lshrrev_b32_e32 v18, 2, v44
	v_mul_u32_u24_e32 v18, 12, v18
	v_sub_f32_e32 v20, v42, v47
	v_sub_f32_e32 v21, v41, v46
	v_or_b32_e32 v24, v18, v30
	v_mov_b32_e32 v18, v22
	v_mov_b32_e32 v19, v23
	v_add_f32_e32 v16, v16, v46
	v_add_f32_e32 v17, v17, v47
	v_fmac_f32_e32 v18, 0x3f5db3d7, v20
	v_fmac_f32_e32 v19, 0xbf5db3d7, v21
	v_lshlrev_b32_e32 v150, 3, v24
	ds_write2_b64 v150, v[16:17], v[18:19] offset1:4
	v_mul_lo_u16_sdwa v16, v134, s0 dst_sel:DWORD dst_unused:UNUSED_PAD src0_sel:BYTE_0 src1_sel:DWORD
	v_lshrrev_b16_e32 v43, 11, v16
	v_mul_lo_u16_sdwa v24, v40, s0 dst_sel:DWORD dst_unused:UNUSED_PAD src0_sel:BYTE_0 src1_sel:DWORD
	v_mul_lo_u16_e32 v16, 12, v43
	v_lshrrev_b16_e32 v52, 11, v24
	v_sub_u16_e32 v16, v134, v16
	v_mul_lo_u16_e32 v24, 12, v52
	v_and_b32_e32 v45, 0xff, v16
	v_sub_u16_e32 v24, v40, v24
	v_fmac_f32_e32 v22, 0xbf5db3d7, v20
	v_fmac_f32_e32 v23, 0x3f5db3d7, v21
	v_lshlrev_b32_e32 v16, 4, v45
	v_mul_lo_u16_sdwa v17, v48, s0 dst_sel:DWORD dst_unused:UNUSED_PAD src0_sel:BYTE_0 src1_sel:DWORD
	v_and_b32_e32 v53, 0xff, v24
	v_mul_lo_u16_sdwa v24, v44, s0 dst_sel:DWORD dst_unused:UNUSED_PAD src0_sel:BYTE_0 src1_sel:DWORD
	ds_write_b64 v150, v[22:23] offset:64
	s_waitcnt lgkmcnt(0)
	; wave barrier
	s_waitcnt lgkmcnt(0)
	v_lshrrev_b16_e32 v47, 11, v17
	global_load_dwordx4 v[20:23], v16, s[14:15] offset:80
	v_lshrrev_b16_e32 v54, 11, v24
	v_lshlrev_b32_e32 v24, 4, v53
	global_load_dwordx4 v[28:31], v24, s[14:15] offset:80
	v_mul_lo_u16_e32 v16, 12, v47
	v_sub_u16_e32 v16, v48, v16
	v_and_b32_e32 v51, 0xff, v16
	v_lshlrev_b32_e32 v16, 4, v51
	global_load_dwordx4 v[16:19], v16, s[14:15] offset:80
	v_mul_lo_u16_e32 v24, 12, v54
	v_sub_u16_e32 v24, v44, v24
	v_and_b32_e32 v55, 0xff, v24
	v_lshlrev_b32_e32 v24, 4, v55
	global_load_dwordx4 v[24:27], v24, s[14:15] offset:80
	ds_read2_b64 v[32:35], v151 offset0:124 offset1:187
	s_movk_i32 s0, 0xffdc
	s_waitcnt vmcnt(3) lgkmcnt(0)
	v_mul_f32_e32 v36, v33, v21
	v_fma_f32 v46, v32, v20, -v36
	ds_read2_b64 v[36:39], v152 offset0:120 offset1:183
	v_mul_f32_e32 v56, v32, v21
	v_fmac_f32_e32 v56, v33, v20
	s_waitcnt lgkmcnt(0)
	v_mul_f32_e32 v60, v36, v23
	s_waitcnt vmcnt(1)
	v_mul_f32_e32 v32, v35, v17
	v_fma_f32 v57, v34, v16, -v32
	v_mul_f32_e32 v58, v34, v17
	v_mul_f32_e32 v32, v37, v23
	v_fmac_f32_e32 v58, v35, v16
	v_fma_f32 v59, v36, v22, -v32
	ds_read2_b64 v[32:35], v49 offset0:122 offset1:185
	v_mul_f32_e32 v36, v39, v19
	v_fma_f32 v61, v38, v18, -v36
	v_mul_f32_e32 v62, v38, v19
	v_fmac_f32_e32 v60, v37, v22
	s_waitcnt lgkmcnt(0)
	v_mul_f32_e32 v36, v33, v29
	v_fmac_f32_e32 v62, v39, v18
	v_fma_f32 v63, v32, v28, -v36
	ds_read2_b64 v[36:39], v50 offset0:118 offset1:181
	v_mul_f32_e32 v64, v32, v29
	s_waitcnt vmcnt(0)
	v_mul_f32_e32 v32, v35, v25
	v_fma_f32 v65, v34, v24, -v32
	v_mul_f32_e32 v66, v34, v25
	s_waitcnt lgkmcnt(0)
	v_mul_f32_e32 v32, v37, v31
	v_fmac_f32_e32 v64, v33, v28
	v_fmac_f32_e32 v66, v35, v24
	v_fma_f32 v67, v36, v30, -v32
	ds_read2_b64 v[32:35], v133 offset1:63
	v_mul_f32_e32 v68, v36, v31
	v_mul_f32_e32 v36, v39, v27
	v_fma_f32 v69, v38, v26, -v36
	v_fmac_f32_e32 v68, v37, v30
	s_waitcnt lgkmcnt(0)
	v_add_f32_e32 v36, v32, v46
	v_add_f32_e32 v41, v36, v59
	;; [unrolled: 1-line block ×6, first 2 shown]
	v_fma_f32 v33, -0.5, v36, v33
	v_mul_lo_u16_e32 v36, 36, v43
	v_fma_f32 v32, -0.5, v37, v32
	v_and_b32_e32 v36, 0xfc, v36
	v_mul_f32_e32 v70, v38, v27
	v_sub_f32_e32 v71, v56, v60
	v_sub_f32_e32 v56, v46, v59
	v_add_lshl_u32 v153, v36, v45, 3
	v_mov_b32_e32 v45, v32
	v_mov_b32_e32 v46, v33
	v_fmac_f32_e32 v70, v39, v26
	v_fmac_f32_e32 v45, 0x3f5db3d7, v71
	;; [unrolled: 1-line block ×3, first 2 shown]
	ds_read2_b64 v[36:39], v133 offset0:126 offset1:189
	v_fmac_f32_e32 v32, 0xbf5db3d7, v71
	v_fmac_f32_e32 v33, 0x3f5db3d7, v56
	s_waitcnt lgkmcnt(0)
	; wave barrier
	s_waitcnt lgkmcnt(0)
	ds_write2_b64 v153, v[41:42], v[45:46] offset1:12
	ds_write_b64 v153, v[32:33] offset:192
	v_add_f32_e32 v33, v57, v61
	v_add_f32_e32 v41, v58, v62
	;; [unrolled: 1-line block ×3, first 2 shown]
	v_fma_f32 v34, -0.5, v33, v34
	v_add_f32_e32 v33, v35, v58
	v_sub_f32_e32 v43, v58, v62
	v_fmac_f32_e32 v35, -0.5, v41
	v_sub_f32_e32 v45, v57, v61
	v_mul_u32_u24_e32 v41, 36, v47
	v_add_lshl_u32 v154, v41, v51, 3
	v_mov_b32_e32 v41, v34
	v_mov_b32_e32 v42, v35
	v_fmac_f32_e32 v34, 0xbf5db3d7, v43
	v_fmac_f32_e32 v35, 0x3f5db3d7, v45
	v_add_f32_e32 v32, v32, v61
	v_add_f32_e32 v33, v33, v62
	v_fmac_f32_e32 v41, 0x3f5db3d7, v43
	v_fmac_f32_e32 v42, 0xbf5db3d7, v45
	ds_write_b64 v154, v[34:35] offset:192
	v_add_f32_e32 v35, v64, v68
	v_add_f32_e32 v34, v63, v67
	ds_write2_b64 v154, v[32:33], v[41:42] offset1:12
	v_add_f32_e32 v32, v36, v63
	v_fma_f32 v34, -0.5, v34, v36
	v_fma_f32 v35, -0.5, v35, v37
	v_mul_u32_u24_e32 v36, 36, v52
	v_add_f32_e32 v33, v37, v64
	v_sub_f32_e32 v41, v64, v68
	v_sub_f32_e32 v42, v63, v67
	v_add_lshl_u32 v155, v36, v53, 3
	v_mov_b32_e32 v36, v34
	v_mov_b32_e32 v37, v35
	v_add_f32_e32 v32, v32, v67
	v_add_f32_e32 v33, v33, v68
	v_fmac_f32_e32 v36, 0x3f5db3d7, v41
	v_fmac_f32_e32 v37, 0xbf5db3d7, v42
	;; [unrolled: 1-line block ×4, first 2 shown]
	ds_write2_b64 v155, v[32:33], v[36:37] offset1:12
	ds_write_b64 v155, v[34:35] offset:192
	v_add_f32_e32 v33, v65, v69
	v_add_f32_e32 v34, v66, v70
	v_add_f32_e32 v32, v38, v65
	v_fma_f32 v38, -0.5, v33, v38
	v_add_f32_e32 v33, v39, v66
	v_fmac_f32_e32 v39, -0.5, v34
	v_mul_u32_u24_e32 v34, 36, v54
	v_sub_f32_e32 v36, v66, v70
	v_sub_f32_e32 v37, v65, v69
	v_add_lshl_u32 v156, v34, v55, 3
	v_mov_b32_e32 v34, v38
	v_mov_b32_e32 v35, v39
	v_add_f32_e32 v32, v32, v69
	v_add_f32_e32 v33, v33, v70
	v_fmac_f32_e32 v34, 0x3f5db3d7, v36
	v_fmac_f32_e32 v35, 0xbf5db3d7, v37
	ds_write2_b64 v156, v[32:33], v[34:35] offset1:12
	v_add_co_u32_e32 v32, vcc, s0, v134
	v_addc_co_u32_e64 v33, s[0:1], 0, -1, vcc
	v_cmp_gt_u16_e32 vcc, 36, v134
	v_cndmask_b32_e64 v60, v33, 0, vcc
	v_cndmask_b32_e32 v59, v32, v134, vcc
	v_lshlrev_b64 v[32:33], 4, v[59:60]
	v_mov_b32_e32 v34, s15
	v_add_co_u32_e32 v32, vcc, s14, v32
	v_mov_b32_e32 v41, 57
	v_fmac_f32_e32 v38, 0xbf5db3d7, v36
	v_fmac_f32_e32 v39, 0x3f5db3d7, v37
	v_addc_co_u32_e32 v33, vcc, v34, v33, vcc
	v_mul_lo_u16_sdwa v34, v48, v41 dst_sel:DWORD dst_unused:UNUSED_PAD src0_sel:BYTE_0 src1_sel:DWORD
	ds_write_b64 v156, v[38:39] offset:192
	s_waitcnt lgkmcnt(0)
	; wave barrier
	s_waitcnt lgkmcnt(0)
	v_lshrrev_b16_e32 v60, 11, v34
	global_load_dwordx4 v[36:39], v[32:33], off offset:272
	v_mul_lo_u16_e32 v32, 36, v60
	v_sub_u16_e32 v32, v48, v32
	v_and_b32_e32 v61, 0xff, v32
	v_lshlrev_b32_e32 v32, 4, v61
	global_load_dwordx4 v[32:35], v32, s[14:15] offset:272
	v_mul_lo_u16_sdwa v42, v40, v41 dst_sel:DWORD dst_unused:UNUSED_PAD src0_sel:BYTE_0 src1_sel:DWORD
	v_lshrrev_b16_e32 v62, 11, v42
	v_mul_lo_u16_e32 v42, 36, v62
	v_sub_u16_e32 v40, v40, v42
	v_and_b32_e32 v64, 0xff, v40
	v_mul_lo_u16_sdwa v41, v44, v41 dst_sel:DWORD dst_unused:UNUSED_PAD src0_sel:BYTE_0 src1_sel:DWORD
	v_lshlrev_b32_e32 v40, 4, v64
	v_lshrrev_b16_e32 v63, 11, v41
	global_load_dwordx4 v[40:43], v40, s[14:15] offset:272
	v_mul_lo_u16_e32 v45, 36, v63
	v_sub_u16_e32 v44, v44, v45
	v_and_b32_e32 v65, 0xff, v44
	v_lshlrev_b32_e32 v44, 4, v65
	global_load_dwordx4 v[44:47], v44, s[14:15] offset:272
	ds_read2_b64 v[51:54], v151 offset0:124 offset1:187
	v_cmp_lt_u16_e32 vcc, 35, v134
	ds_read2_b64 v[74:77], v133 offset0:126 offset1:189
	v_cmp_gt_u16_e64 s[0:1], 45, v134
	s_waitcnt vmcnt(3) lgkmcnt(1)
	v_mul_f32_e32 v55, v52, v37
	v_fma_f32 v66, v51, v36, -v55
	ds_read2_b64 v[55:58], v152 offset0:120 offset1:183
	v_mul_f32_e32 v67, v51, v37
	v_fmac_f32_e32 v67, v52, v36
	s_waitcnt vmcnt(2)
	v_mul_f32_e32 v51, v54, v33
	v_fma_f32 v68, v53, v32, -v51
	v_mul_f32_e32 v69, v53, v33
	s_waitcnt lgkmcnt(0)
	v_mul_f32_e32 v51, v56, v39
	v_fmac_f32_e32 v69, v54, v32
	v_fma_f32 v70, v55, v38, -v51
	ds_read2_b64 v[51:54], v49 offset0:122 offset1:185
	v_mul_f32_e32 v71, v55, v39
	v_mul_f32_e32 v55, v58, v35
	v_fma_f32 v72, v57, v34, -v55
	v_mul_f32_e32 v73, v57, v35
	s_waitcnt vmcnt(1) lgkmcnt(0)
	v_mul_f32_e32 v55, v52, v41
	v_fmac_f32_e32 v71, v56, v38
	v_fmac_f32_e32 v73, v58, v34
	v_fma_f32 v78, v51, v40, -v55
	ds_read2_b64 v[55:58], v50 offset0:118 offset1:181
	s_waitcnt vmcnt(0)
	v_mul_f32_e32 v50, v54, v45
	v_fma_f32 v80, v53, v44, -v50
	v_mul_f32_e32 v79, v51, v41
	v_fmac_f32_e32 v79, v52, v40
	s_waitcnt lgkmcnt(0)
	v_mul_f32_e32 v50, v56, v43
	v_fma_f32 v82, v55, v42, -v50
	v_mul_f32_e32 v50, v58, v47
	v_mul_f32_e32 v81, v53, v45
	v_fma_f32 v85, v57, v46, -v50
	ds_read2_b64 v[50:53], v133 offset1:63
	v_fmac_f32_e32 v81, v54, v44
	v_mul_f32_e32 v83, v55, v43
	v_mov_b32_e32 v54, 0x6c
	v_fmac_f32_e32 v83, v56, v42
	v_mul_f32_e32 v86, v57, v47
	v_cndmask_b32_e32 v54, 0, v54, vcc
	v_add_f32_e32 v56, v67, v71
	v_add_f32_e32 v57, v66, v70
	v_add_lshl_u32 v157, v59, v54, 3
	s_waitcnt lgkmcnt(0)
	v_add_f32_e32 v54, v50, v66
	v_add_f32_e32 v55, v51, v67
	v_fma_f32 v50, -0.5, v57, v50
	v_fma_f32 v51, -0.5, v56, v51
	v_fmac_f32_e32 v86, v58, v46
	v_sub_f32_e32 v58, v67, v71
	v_sub_f32_e32 v59, v66, v70
	v_mov_b32_e32 v56, v50
	v_mov_b32_e32 v57, v51
	v_add_f32_e32 v54, v54, v70
	v_add_f32_e32 v55, v55, v71
	v_fmac_f32_e32 v56, 0x3f5db3d7, v58
	v_fmac_f32_e32 v57, 0xbf5db3d7, v59
	v_fmac_f32_e32 v50, 0xbf5db3d7, v58
	v_fmac_f32_e32 v51, 0x3f5db3d7, v59
	s_waitcnt lgkmcnt(0)
	; wave barrier
	ds_write2_b64 v157, v[54:55], v[56:57] offset1:36
	ds_write_b64 v157, v[50:51] offset:576
	v_add_f32_e32 v51, v68, v72
	v_add_f32_e32 v54, v69, v73
	;; [unrolled: 1-line block ×3, first 2 shown]
	v_fma_f32 v52, -0.5, v51, v52
	v_add_f32_e32 v51, v53, v69
	v_fmac_f32_e32 v53, -0.5, v54
	v_mul_u32_u24_e32 v54, 0x6c, v60
	v_sub_f32_e32 v56, v69, v73
	v_sub_f32_e32 v57, v68, v72
	v_add_lshl_u32 v159, v54, v61, 3
	v_mov_b32_e32 v54, v52
	v_mov_b32_e32 v55, v53
	v_add_f32_e32 v50, v50, v72
	v_add_f32_e32 v51, v51, v73
	v_fmac_f32_e32 v54, 0x3f5db3d7, v56
	v_fmac_f32_e32 v55, 0xbf5db3d7, v57
	;; [unrolled: 1-line block ×4, first 2 shown]
	ds_write2_b64 v159, v[50:51], v[54:55] offset1:36
	ds_write_b64 v159, v[52:53] offset:576
	v_add_f32_e32 v53, v79, v83
	v_add_f32_e32 v54, v78, v82
	;; [unrolled: 1-line block ×4, first 2 shown]
	v_fma_f32 v74, -0.5, v54, v74
	v_fma_f32 v75, -0.5, v53, v75
	v_sub_f32_e32 v52, v79, v83
	v_sub_f32_e32 v53, v78, v82
	v_mul_u32_u24_e32 v54, 0x6c, v62
	v_mov_b32_e32 v72, v74
	v_mov_b32_e32 v73, v75
	v_add_f32_e32 v50, v50, v82
	v_add_f32_e32 v51, v51, v83
	v_add_lshl_u32 v160, v54, v64, 3
	v_fmac_f32_e32 v72, 0x3f5db3d7, v52
	v_fmac_f32_e32 v73, 0xbf5db3d7, v53
	ds_write2_b64 v160, v[50:51], v[72:73] offset1:36
	v_add_f32_e32 v51, v80, v85
	v_add_f32_e32 v50, v76, v80
	v_fma_f32 v76, -0.5, v51, v76
	v_add_f32_e32 v82, v50, v85
	v_mov_b32_e32 v84, v76
	v_sub_f32_e32 v50, v81, v86
	v_fmac_f32_e32 v84, 0x3f5db3d7, v50
	v_fmac_f32_e32 v76, 0xbf5db3d7, v50
	v_add_f32_e32 v50, v77, v81
	v_add_f32_e32 v83, v50, v86
	;; [unrolled: 1-line block ×3, first 2 shown]
	v_fmac_f32_e32 v77, -0.5, v50
	v_sub_f32_e32 v50, v80, v85
	v_mov_b32_e32 v85, v77
	v_fmac_f32_e32 v74, 0xbf5db3d7, v52
	v_fmac_f32_e32 v75, 0x3f5db3d7, v53
	;; [unrolled: 1-line block ×4, first 2 shown]
	v_mul_u32_u24_e32 v50, 0x6c, v63
	v_add_lshl_u32 v161, v50, v65, 3
	ds_write_b64 v160, v[74:75] offset:576
	ds_write2_b64 v161, v[82:83], v[84:85] offset1:36
	ds_write_b64 v161, v[76:77] offset:576
	s_waitcnt lgkmcnt(0)
	; wave barrier
	s_waitcnt lgkmcnt(0)
	ds_read_b64 v[129:130], v133 offset:5184
	ds_read2_b64 v[78:81], v133 offset1:108
	ds_read2_b64 v[90:93], v151 offset0:88 offset1:196
	ds_read2_b64 v[86:89], v152 offset0:48 offset1:156
	s_and_saveexec_b64 s[4:5], s[0:1]
	s_cbranch_execz .LBB0_3
; %bb.2:
	ds_read2_b64 v[72:75], v133 offset0:63 offset1:171
	ds_read2_b64 v[94:97], v152 offset0:111 offset1:219
	ds_read2_b64 v[82:85], v49 offset0:23 offset1:131
	ds_read_b64 v[131:132], v133 offset:5688
	s_waitcnt lgkmcnt(2)
	v_mov_b32_e32 v76, v94
	v_mov_b32_e32 v77, v95
.LBB0_3:
	s_or_b64 exec, exec, s[4:5]
	v_mad_u64_u32 v[49:50], s[4:5], v134, 48, s[14:15]
	v_subrev_u32_e32 v51, 45, v134
	v_cndmask_b32_e64 v48, v51, v48, s[0:1]
	v_mul_hi_i32_i24_e32 v51, 48, v48
	v_mul_i32_i24_e32 v48, 48, v48
	global_load_dwordx4 v[64:67], v[49:50], off offset:848
	global_load_dwordx4 v[60:63], v[49:50], off offset:864
	v_mov_b32_e32 v53, s15
	global_load_dwordx4 v[68:71], v[49:50], off offset:880
	v_add_co_u32_e32 v52, vcc, s14, v48
	v_addc_co_u32_e32 v53, vcc, v53, v51, vcc
	global_load_dwordx4 v[48:51], v[52:53], off offset:848
	global_load_dwordx4 v[56:59], v[52:53], off offset:864
	s_nop 0
	global_load_dwordx4 v[52:55], v[52:53], off offset:880
	v_lshlrev_b32_e32 v95, 3, v162
	v_lshlrev_b32_e32 v94, 4, v158
	s_mov_b32 s4, 0x3f5ff5aa
	s_mov_b32 s5, 0x3f3bfb3b
	s_waitcnt vmcnt(5) lgkmcnt(2)
	v_mul_f32_e32 v158, v81, v65
	v_mul_f32_e32 v162, v80, v65
	s_waitcnt lgkmcnt(1)
	v_mul_f32_e32 v163, v91, v67
	s_waitcnt vmcnt(4) lgkmcnt(0)
	v_mul_f32_e32 v168, v86, v63
	s_waitcnt vmcnt(3)
	v_mul_f32_e32 v169, v89, v69
	v_mul_f32_e32 v171, v130, v71
	;; [unrolled: 1-line block ×7, first 2 shown]
	s_waitcnt vmcnt(2)
	v_mul_f32_e32 v174, v74, v49
	v_mul_f32_e32 v175, v83, v51
	s_waitcnt vmcnt(1)
	v_mul_f32_e32 v177, v85, v57
	v_fma_f32 v80, v80, v64, -v158
	v_fmac_f32_e32 v162, v81, v64
	v_fma_f32 v81, v90, v66, -v163
	v_fmac_f32_e32 v168, v87, v62
	v_fma_f32 v87, v88, v68, -v169
	v_fma_f32 v88, v129, v70, -v171
	v_mul_f32_e32 v166, v92, v61
	v_mul_f32_e32 v173, v75, v49
	;; [unrolled: 1-line block ×5, first 2 shown]
	s_waitcnt vmcnt(0)
	v_mul_f32_e32 v181, v97, v53
	v_fmac_f32_e32 v164, v91, v66
	v_fma_f32 v90, v92, v60, -v165
	v_fma_f32 v86, v86, v62, -v167
	v_fmac_f32_e32 v170, v89, v68
	v_fmac_f32_e32 v172, v130, v70
	;; [unrolled: 1-line block ×3, first 2 shown]
	v_fma_f32 v75, v82, v50, -v175
	v_fma_f32 v82, v84, v56, -v177
	v_add_f32_e32 v84, v80, v88
	v_add_f32_e32 v89, v81, v87
	v_mul_f32_e32 v179, v77, v59
	v_mul_f32_e32 v182, v96, v53
	;; [unrolled: 1-line block ×3, first 2 shown]
	v_fmac_f32_e32 v166, v93, v60
	v_fmac_f32_e32 v178, v85, v56
	;; [unrolled: 1-line block ×3, first 2 shown]
	v_fma_f32 v77, v96, v52, -v181
	v_add_f32_e32 v85, v162, v172
	v_add_f32_e32 v91, v164, v170
	v_sub_f32_e32 v81, v81, v87
	v_add_f32_e32 v92, v90, v86
	v_sub_f32_e32 v86, v86, v90
	v_add_f32_e32 v96, v89, v84
	v_mul_f32_e32 v184, v131, v55
	v_fmac_f32_e32 v176, v83, v50
	v_fmac_f32_e32 v182, v97, v52
	v_fma_f32 v83, v131, v54, -v183
	v_sub_f32_e32 v80, v80, v88
	v_sub_f32_e32 v87, v164, v170
	v_add_f32_e32 v93, v166, v168
	v_sub_f32_e32 v90, v168, v166
	v_add_f32_e32 v97, v91, v85
	v_sub_f32_e32 v129, v89, v84
	v_sub_f32_e32 v84, v84, v92
	;; [unrolled: 1-line block ×3, first 2 shown]
	v_add_f32_e32 v131, v86, v81
	v_add_f32_e32 v92, v92, v96
	v_fmac_f32_e32 v184, v132, v54
	v_sub_f32_e32 v88, v162, v172
	v_sub_f32_e32 v130, v91, v85
	;; [unrolled: 1-line block ×4, first 2 shown]
	v_add_f32_e32 v132, v90, v87
	v_sub_f32_e32 v158, v86, v81
	v_sub_f32_e32 v86, v80, v86
	;; [unrolled: 1-line block ×3, first 2 shown]
	v_add_f32_e32 v93, v93, v97
	v_add_f32_e32 v80, v131, v80
	;; [unrolled: 1-line block ×3, first 2 shown]
	v_sub_f32_e32 v162, v90, v87
	v_sub_f32_e32 v90, v88, v90
	;; [unrolled: 1-line block ×3, first 2 shown]
	v_add_f32_e32 v88, v132, v88
	v_add_f32_e32 v132, v79, v93
	v_mov_b32_e32 v163, v131
	v_mul_f32_e32 v78, 0x3f4a47b2, v84
	v_mul_f32_e32 v79, 0x3f4a47b2, v85
	;; [unrolled: 1-line block ×6, first 2 shown]
	v_fmac_f32_e32 v163, 0xbf955555, v92
	v_mov_b32_e32 v92, v132
	v_mul_f32_e32 v158, 0x3f5ff5aa, v81
	v_mul_f32_e32 v162, 0x3f5ff5aa, v87
	v_fmac_f32_e32 v92, 0xbf955555, v93
	v_fma_f32 v84, v129, s5, -v84
	v_fma_f32 v85, v130, s5, -v85
	s_mov_b32 s5, 0xbf3bfb3b
	v_fma_f32 v81, v81, s4, -v96
	v_fma_f32 v87, v87, s4, -v97
	s_mov_b32 s4, 0xbeae86e6
	v_fma_f32 v93, v129, s5, -v78
	v_fmac_f32_e32 v78, 0x3d64c772, v89
	v_fma_f32 v89, v130, s5, -v79
	v_fmac_f32_e32 v96, 0x3eae86e6, v86
	v_fma_f32 v86, v86, s4, -v158
	v_add_f32_e32 v85, v85, v92
	v_fmac_f32_e32 v81, 0x3ee1c552, v80
	v_fma_f32 v74, v74, v48, -v173
	v_add_f32_e32 v84, v84, v163
	v_add_f32_e32 v89, v89, v92
	v_fmac_f32_e32 v87, 0x3ee1c552, v88
	v_fmac_f32_e32 v86, 0x3ee1c552, v80
	v_add_f32_e32 v167, v81, v85
	v_sub_f32_e32 v169, v85, v81
	v_add_f32_e32 v81, v174, v184
	v_add_f32_e32 v85, v176, v182
	v_fma_f32 v76, v76, v58, -v179
	v_fmac_f32_e32 v97, 0x3eae86e6, v90
	v_fma_f32 v90, v90, s4, -v162
	v_fmac_f32_e32 v96, 0x3ee1c552, v80
	v_sub_f32_e32 v165, v89, v86
	v_sub_f32_e32 v166, v84, v87
	v_add_f32_e32 v168, v87, v84
	v_add_f32_e32 v171, v86, v89
	v_add_f32_e32 v80, v74, v83
	v_add_f32_e32 v84, v75, v77
	v_add_f32_e32 v87, v178, v180
	v_add_f32_e32 v89, v85, v81
	v_fmac_f32_e32 v79, 0x3d64c772, v91
	v_add_f32_e32 v78, v78, v163
	v_add_f32_e32 v91, v93, v163
	v_fmac_f32_e32 v97, 0x3ee1c552, v88
	v_fmac_f32_e32 v90, 0x3ee1c552, v88
	v_sub_f32_e32 v75, v75, v77
	v_sub_f32_e32 v77, v176, v182
	v_add_f32_e32 v86, v82, v76
	v_sub_f32_e32 v76, v76, v82
	v_sub_f32_e32 v82, v180, v178
	v_add_f32_e32 v88, v84, v80
	v_add_f32_e32 v89, v87, v89
	;; [unrolled: 1-line block ×5, first 2 shown]
	v_sub_f32_e32 v170, v91, v90
	v_sub_f32_e32 v172, v78, v97
	;; [unrolled: 1-line block ×7, first 2 shown]
	v_add_f32_e32 v97, v86, v88
	v_add_f32_e32 v73, v73, v89
	v_sub_f32_e32 v163, v79, v96
	v_add_f32_e32 v173, v96, v79
	v_sub_f32_e32 v78, v84, v80
	v_sub_f32_e32 v79, v85, v81
	;; [unrolled: 1-line block ×5, first 2 shown]
	v_add_f32_e32 v84, v76, v75
	v_add_f32_e32 v85, v82, v77
	v_sub_f32_e32 v96, v83, v82
	v_sub_f32_e32 v75, v75, v74
	;; [unrolled: 1-line block ×3, first 2 shown]
	v_add_f32_e32 v72, v72, v97
	v_mul_f32_e32 v129, 0x3f4a47b2, v91
	v_mul_f32_e32 v86, 0xbf08b237, v92
	;; [unrolled: 1-line block ×3, first 2 shown]
	v_mov_b32_e32 v91, v73
	v_sub_f32_e32 v76, v74, v76
	v_add_f32_e32 v84, v84, v74
	v_add_f32_e32 v85, v85, v83
	v_mul_f32_e32 v74, 0x3f4a47b2, v90
	v_mul_f32_e32 v88, 0x3f5ff5aa, v75
	;; [unrolled: 1-line block ×3, first 2 shown]
	v_mov_b32_e32 v83, v72
	v_fmac_f32_e32 v91, 0xbf955555, v89
	v_mov_b32_e32 v89, v86
	v_mov_b32_e32 v90, v82
	v_fmac_f32_e32 v83, 0xbf955555, v97
	v_fma_f32 v75, v78, s5, -v74
	v_fmac_f32_e32 v74, 0x3d64c772, v80
	v_fma_f32 v77, v79, s5, -v129
	v_fmac_f32_e32 v129, 0x3d64c772, v81
	v_fmac_f32_e32 v89, 0x3eae86e6, v76
	;; [unrolled: 1-line block ×3, first 2 shown]
	v_fma_f32 v93, v76, s4, -v88
	v_fma_f32 v96, v96, s4, -v87
	v_add_f32_e32 v92, v74, v83
	v_add_f32_e32 v97, v129, v91
	;; [unrolled: 1-line block ×4, first 2 shown]
	v_fmac_f32_e32 v89, 0x3ee1c552, v84
	v_fmac_f32_e32 v90, 0x3ee1c552, v85
	;; [unrolled: 1-line block ×4, first 2 shown]
	v_sub_f32_e32 v74, v129, v96
	v_add_f32_e32 v75, v93, v130
	v_sub_f32_e32 v76, v92, v90
	v_add_f32_e32 v77, v89, v97
	ds_write2_b64 v133, v[131:132], v[162:163] offset1:108
	ds_write2_b64 v151, v[164:165], v[166:167] offset0:88 offset1:196
	ds_write2_b64 v152, v[168:169], v[170:171] offset0:48 offset1:156
	ds_write_b64 v133, v[172:173] offset:5184
	s_and_saveexec_b64 s[4:5], s[0:1]
	s_cbranch_execz .LBB0_5
; %bb.4:
	v_mul_f32_e32 v81, 0x3d64c772, v81
	v_mul_f32_e32 v79, 0x3f3bfb3b, v79
	v_sub_f32_e32 v79, v79, v81
	v_mul_f32_e32 v80, 0x3d64c772, v80
	v_mul_f32_e32 v78, 0x3f3bfb3b, v78
	;; [unrolled: 1-line block ×3, first 2 shown]
	v_add_f32_e32 v81, v79, v91
	v_sub_f32_e32 v79, v88, v86
	v_mul_f32_e32 v85, 0x3ee1c552, v85
	v_add_f32_e32 v84, v84, v79
	v_sub_f32_e32 v82, v87, v82
	v_sub_f32_e32 v78, v78, v80
	;; [unrolled: 1-line block ×3, first 2 shown]
	v_add_f32_e32 v82, v85, v82
	v_add_f32_e32 v80, v78, v83
	;; [unrolled: 1-line block ×3, first 2 shown]
	v_sub_f32_e32 v85, v97, v89
	v_add_f32_e32 v84, v90, v92
	v_add_f32_e32 v78, v82, v80
	v_sub_f32_e32 v80, v80, v82
	v_sub_f32_e32 v83, v130, v93
	v_add_f32_e32 v82, v96, v129
	ds_write2_b64 v133, v[72:73], v[84:85] offset0:63 offset1:171
	v_add_u32_e32 v72, 0x800, v133
	ds_write2_b64 v72, v[82:83], v[80:81] offset0:23 offset1:131
	v_add_u32_e32 v72, 0xc00, v133
	ds_write2_b64 v72, v[78:79], v[74:75] offset0:111 offset1:219
	ds_write_b64 v133, v[76:77] offset:5688
.LBB0_5:
	s_or_b64 exec, exec, s[4:5]
	v_lshlrev_b32_e32 v72, 3, v134
	v_mov_b32_e32 v73, s13
	v_add_co_u32_e32 v80, vcc, s12, v72
	v_addc_co_u32_e32 v81, vcc, 0, v73, vcc
	v_add_co_u32_e32 v72, vcc, 0x17a0, v80
	v_addc_co_u32_e32 v73, vcc, 0, v81, vcc
	s_waitcnt lgkmcnt(0)
	; wave barrier
	s_waitcnt lgkmcnt(0)
	global_load_dwordx2 v[85:86], v[72:73], off offset:504
	v_add_co_u32_e32 v78, vcc, 0x1000, v80
	v_addc_co_u32_e32 v79, vcc, 0, v81, vcc
	global_load_dwordx2 v[87:88], v[78:79], off offset:1952
	global_load_dwordx2 v[96:97], v[72:73], off offset:3024
	global_load_dwordx2 v[151:152], v[72:73], off offset:3528
	global_load_dwordx2 v[166:167], v[72:73], off offset:4032
	global_load_dwordx2 v[168:169], v[72:73], off offset:1008
	global_load_dwordx2 v[170:171], v[72:73], off offset:1512
	s_movk_i32 s4, 0x2000
	v_add_co_u32_e32 v78, vcc, s4, v80
	v_addc_co_u32_e32 v79, vcc, 0, v81, vcc
	global_load_dwordx2 v[172:173], v[78:79], off offset:2392
	global_load_dwordx2 v[174:175], v[72:73], off offset:2016
	;; [unrolled: 1-line block ×5, first 2 shown]
	ds_read2_b64 v[81:84], v133 offset1:63
	v_add_u32_e32 v80, 0x800, v133
	v_add_u32_e32 v78, 0xc00, v133
	;; [unrolled: 1-line block ×4, first 2 shown]
	s_waitcnt vmcnt(10) lgkmcnt(0)
	v_mul_f32_e32 v89, v82, v88
	v_mul_f32_e32 v73, v84, v86
	v_mul_f32_e32 v183, v83, v86
	v_mul_f32_e32 v86, v81, v88
	v_fma_f32 v182, v83, v85, -v73
	v_fmac_f32_e32 v183, v84, v85
	v_fma_f32 v85, v81, v87, -v89
	v_fmac_f32_e32 v86, v82, v87
	ds_write_b64 v133, v[85:86]
	ds_read2_b64 v[81:84], v80 offset0:122 offset1:185
	ds_read2_b64 v[85:88], v133 offset0:126 offset1:189
	;; [unrolled: 1-line block ×5, first 2 shown]
	s_waitcnt vmcnt(9) lgkmcnt(4)
	v_mul_f32_e32 v185, v81, v97
	v_mul_f32_e32 v73, v82, v97
	s_waitcnt vmcnt(8)
	v_mul_f32_e32 v158, v84, v152
	v_mul_f32_e32 v97, v83, v152
	s_waitcnt vmcnt(6) lgkmcnt(3)
	v_mul_f32_e32 v186, v86, v169
	v_mul_f32_e32 v152, v85, v169
	s_waitcnt lgkmcnt(2)
	v_mul_f32_e32 v187, v90, v167
	v_mul_f32_e32 v169, v89, v167
	s_waitcnt vmcnt(5)
	v_mul_f32_e32 v188, v88, v171
	v_mul_f32_e32 v167, v87, v171
	s_waitcnt vmcnt(4)
	v_mul_f32_e32 v189, v92, v173
	v_mul_f32_e32 v171, v91, v173
	s_waitcnt vmcnt(3) lgkmcnt(1)
	v_mul_f32_e32 v190, v130, v175
	v_mul_f32_e32 v93, v129, v175
	s_waitcnt vmcnt(2) lgkmcnt(0)
	v_mul_f32_e32 v191, v163, v177
	v_mul_f32_e32 v173, v162, v177
	s_waitcnt vmcnt(1)
	v_mul_f32_e32 v177, v132, v179
	v_mul_f32_e32 v175, v131, v179
	s_waitcnt vmcnt(0)
	v_mul_f32_e32 v179, v165, v181
	v_fmac_f32_e32 v185, v82, v96
	v_mul_f32_e32 v82, v164, v181
	v_fma_f32 v184, v81, v96, -v73
	v_fma_f32 v96, v83, v151, -v158
	v_fmac_f32_e32 v97, v84, v151
	v_fma_f32 v151, v85, v168, -v186
	v_fmac_f32_e32 v152, v86, v168
	;; [unrolled: 2-line block ×4, first 2 shown]
	v_fmac_f32_e32 v171, v92, v172
	v_fma_f32 v92, v129, v174, -v190
	v_fma_f32 v81, v164, v180, -v179
	v_fmac_f32_e32 v82, v165, v180
	v_fma_f32 v170, v91, v172, -v189
	v_fmac_f32_e32 v93, v130, v174
	;; [unrolled: 2-line block ×4, first 2 shown]
	ds_write2_b64 v133, v[182:183], v[151:152] offset0:63 offset1:126
	ds_write2_b64 v80, v[96:97], v[168:169] offset0:185 offset1:248
	;; [unrolled: 1-line block ×5, first 2 shown]
	ds_write_b64 v133, v[81:82] offset:5544
	s_waitcnt lgkmcnt(0)
	; wave barrier
	s_waitcnt lgkmcnt(0)
	ds_read2_b64 v[81:84], v133 offset1:63
	ds_read2_b64 v[85:88], v80 offset0:122 offset1:185
	ds_read2_b64 v[89:92], v133 offset0:126 offset1:189
	;; [unrolled: 1-line block ×5, first 2 shown]
	s_waitcnt lgkmcnt(4)
	v_sub_f32_e32 v172, v81, v85
	v_sub_f32_e32 v173, v82, v86
	s_waitcnt lgkmcnt(2)
	v_sub_f32_e32 v176, v89, v129
	v_sub_f32_e32 v177, v90, v130
	;; [unrolled: 1-line block ×4, first 2 shown]
	v_fma_f32 v174, v89, 2.0, -v176
	v_fma_f32 v175, v90, 2.0, -v177
	v_sub_f32_e32 v89, v91, v131
	v_sub_f32_e32 v90, v92, v132
	s_waitcnt lgkmcnt(0)
	v_sub_f32_e32 v131, v162, v166
	v_sub_f32_e32 v132, v163, v167
	v_fma_f32 v170, v81, 2.0, -v172
	v_fma_f32 v171, v82, 2.0, -v173
	;; [unrolled: 1-line block ×8, first 2 shown]
	v_sub_f32_e32 v166, v164, v168
	v_sub_f32_e32 v167, v165, v169
	v_fma_f32 v164, v164, 2.0, -v166
	v_fma_f32 v165, v165, 2.0, -v167
	s_waitcnt lgkmcnt(0)
	; wave barrier
	ds_write_b128 v135, v[170:173]
	ds_write_b128 v136, v[83:86]
	;; [unrolled: 1-line block ×6, first 2 shown]
	s_waitcnt lgkmcnt(0)
	; wave barrier
	s_waitcnt lgkmcnt(0)
	ds_read2_b64 v[81:84], v133 offset1:63
	ds_read2_b64 v[85:88], v80 offset0:122 offset1:185
	ds_read2_b64 v[89:92], v133 offset0:126 offset1:189
	;; [unrolled: 1-line block ×5, first 2 shown]
	s_waitcnt lgkmcnt(4)
	v_mul_f32_e32 v73, v124, v86
	v_fmac_f32_e32 v73, v123, v85
	v_mul_f32_e32 v85, v124, v85
	v_fma_f32 v86, v123, v86, -v85
	v_mul_f32_e32 v85, v126, v87
	v_mul_f32_e32 v97, v126, v88
	v_fma_f32 v88, v140, v88, -v85
	s_waitcnt lgkmcnt(2)
	v_mul_f32_e32 v85, v124, v93
	v_mul_f32_e32 v126, v124, v94
	v_fma_f32 v94, v123, v94, -v85
	v_mul_f32_e32 v85, v128, v95
	v_fmac_f32_e32 v97, v140, v87
	v_mul_f32_e32 v140, v128, v96
	v_fma_f32 v96, v127, v96, -v85
	s_waitcnt lgkmcnt(0)
	v_mul_f32_e32 v85, v124, v135
	v_fmac_f32_e32 v140, v127, v95
	v_mul_f32_e32 v127, v124, v136
	v_fma_f32 v124, v123, v136, -v85
	v_mul_f32_e32 v128, v139, v138
	v_mul_f32_e32 v85, v139, v137
	v_fmac_f32_e32 v126, v123, v93
	v_fmac_f32_e32 v127, v123, v135
	;; [unrolled: 1-line block ×3, first 2 shown]
	v_fma_f32 v135, v125, v138, -v85
	v_sub_f32_e32 v85, v81, v73
	v_sub_f32_e32 v86, v82, v86
	;; [unrolled: 1-line block ×12, first 2 shown]
	v_fma_f32 v81, v81, 2.0, -v85
	v_fma_f32 v82, v82, 2.0, -v86
	;; [unrolled: 1-line block ×12, first 2 shown]
	s_waitcnt lgkmcnt(0)
	; wave barrier
	ds_write2_b64 v141, v[81:82], v[85:86] offset1:2
	ds_write2_b64 v142, v[83:84], v[87:88] offset1:2
	;; [unrolled: 1-line block ×6, first 2 shown]
	s_waitcnt lgkmcnt(0)
	; wave barrier
	s_waitcnt lgkmcnt(0)
	ds_read2_b64 v[81:84], v133 offset1:63
	ds_read2_b64 v[85:88], v79 offset0:124 offset1:187
	ds_read2_b64 v[89:92], v78 offset0:120 offset1:183
	;; [unrolled: 1-line block ×5, first 2 shown]
	s_waitcnt lgkmcnt(4)
	v_mul_f32_e32 v73, v1, v86
	v_mul_f32_e32 v1, v1, v85
	v_fmac_f32_e32 v73, v0, v85
	v_fma_f32 v85, v0, v86, -v1
	s_waitcnt lgkmcnt(3)
	v_mul_f32_e32 v86, v3, v90
	v_mul_f32_e32 v0, v3, v89
	v_fmac_f32_e32 v86, v2, v89
	v_fma_f32 v3, v2, v90, -v0
	v_mul_f32_e32 v89, v5, v88
	v_mul_f32_e32 v0, v5, v87
	v_fmac_f32_e32 v89, v4, v87
	v_fma_f32 v87, v4, v88, -v0
	v_mul_f32_e32 v0, v7, v91
	v_mul_f32_e32 v88, v7, v92
	v_fma_f32 v90, v6, v92, -v0
	s_waitcnt lgkmcnt(1)
	v_mul_f32_e32 v0, v9, v123
	v_fmac_f32_e32 v88, v6, v91
	v_mul_f32_e32 v91, v9, v124
	v_fma_f32 v92, v8, v124, -v0
	s_waitcnt lgkmcnt(0)
	v_mul_f32_e32 v0, v11, v127
	v_fmac_f32_e32 v91, v8, v123
	v_fma_f32 v123, v10, v128, -v0
	v_add_f32_e32 v1, v73, v86
	v_mul_f32_e32 v97, v11, v128
	v_mul_f32_e32 v124, v13, v126
	v_mul_f32_e32 v0, v13, v125
	v_fma_f32 v2, -0.5, v1, v81
	v_add_f32_e32 v13, v92, v123
	v_fmac_f32_e32 v97, v10, v127
	v_fmac_f32_e32 v124, v12, v125
	v_fma_f32 v125, v12, v126, -v0
	v_mul_f32_e32 v0, v15, v129
	v_sub_f32_e32 v1, v85, v3
	v_mov_b32_e32 v4, v2
	v_fma_f32 v13, -0.5, v13, v94
	v_mul_f32_e32 v126, v15, v130
	v_fma_f32 v127, v14, v130, -v0
	v_add_f32_e32 v0, v81, v73
	v_fmac_f32_e32 v4, 0xbf5db3d7, v1
	v_fmac_f32_e32 v2, 0x3f5db3d7, v1
	v_add_f32_e32 v1, v82, v85
	v_sub_f32_e32 v6, v73, v86
	v_sub_f32_e32 v73, v91, v97
	v_mov_b32_e32 v15, v13
	v_fmac_f32_e32 v126, v14, v129
	v_add_f32_e32 v1, v1, v3
	v_add_f32_e32 v3, v85, v3
	v_fmac_f32_e32 v15, 0x3f5db3d7, v73
	v_fmac_f32_e32 v13, 0xbf5db3d7, v73
	v_add_f32_e32 v73, v95, v124
	v_fma_f32 v3, -0.5, v3, v82
	v_add_f32_e32 v81, v73, v126
	v_add_f32_e32 v73, v124, v126
	v_mov_b32_e32 v5, v3
	v_add_f32_e32 v7, v89, v88
	v_fma_f32 v95, -0.5, v73, v95
	v_fmac_f32_e32 v5, 0x3f5db3d7, v6
	v_fmac_f32_e32 v3, 0xbf5db3d7, v6
	v_add_f32_e32 v6, v83, v89
	v_fma_f32 v83, -0.5, v7, v83
	v_sub_f32_e32 v73, v125, v127
	v_mov_b32_e32 v85, v95
	v_sub_f32_e32 v7, v87, v90
	v_mov_b32_e32 v8, v83
	v_add_f32_e32 v9, v87, v90
	v_add_f32_e32 v11, v91, v97
	v_fmac_f32_e32 v85, 0xbf5db3d7, v73
	v_fmac_f32_e32 v95, 0x3f5db3d7, v73
	v_add_f32_e32 v73, v96, v125
	v_fmac_f32_e32 v8, 0xbf5db3d7, v7
	v_fmac_f32_e32 v83, 0x3f5db3d7, v7
	v_add_f32_e32 v7, v84, v87
	v_fmac_f32_e32 v84, -0.5, v9
	v_fma_f32 v12, -0.5, v11, v93
	v_add_f32_e32 v82, v73, v127
	v_add_f32_e32 v73, v125, v127
	v_sub_f32_e32 v10, v89, v88
	v_mov_b32_e32 v9, v84
	v_sub_f32_e32 v11, v92, v123
	v_mov_b32_e32 v14, v12
	v_fmac_f32_e32 v96, -0.5, v73
	v_add_f32_e32 v0, v0, v86
	v_fmac_f32_e32 v9, 0x3f5db3d7, v10
	v_fmac_f32_e32 v84, 0xbf5db3d7, v10
	v_add_f32_e32 v10, v93, v91
	v_fmac_f32_e32 v14, 0xbf5db3d7, v11
	v_fmac_f32_e32 v12, 0x3f5db3d7, v11
	v_add_f32_e32 v11, v94, v92
	v_sub_f32_e32 v73, v124, v126
	v_mov_b32_e32 v86, v96
	v_add_f32_e32 v6, v6, v88
	v_add_f32_e32 v7, v7, v90
	;; [unrolled: 1-line block ×4, first 2 shown]
	v_fmac_f32_e32 v86, 0x3f5db3d7, v73
	v_fmac_f32_e32 v96, 0xbf5db3d7, v73
	s_waitcnt lgkmcnt(0)
	; wave barrier
	ds_write2_b64 v147, v[0:1], v[4:5] offset1:4
	ds_write_b64 v147, v[2:3] offset:64
	ds_write2_b64 v148, v[6:7], v[8:9] offset1:4
	ds_write_b64 v148, v[83:84] offset:64
	ds_write2_b64 v149, v[10:11], v[14:15] offset1:4
	ds_write_b64 v149, v[12:13] offset:64
	ds_write2_b64 v150, v[81:82], v[85:86] offset1:4
	ds_write_b64 v150, v[95:96] offset:64
	s_waitcnt lgkmcnt(0)
	; wave barrier
	s_waitcnt lgkmcnt(0)
	ds_read2_b64 v[0:3], v133 offset1:63
	ds_read2_b64 v[4:7], v79 offset0:124 offset1:187
	ds_read2_b64 v[8:11], v78 offset0:120 offset1:183
	;; [unrolled: 1-line block ×5, first 2 shown]
	s_waitcnt lgkmcnt(4)
	v_mul_f32_e32 v73, v21, v5
	v_fmac_f32_e32 v73, v20, v4
	v_mul_f32_e32 v4, v21, v4
	v_fma_f32 v20, v20, v5, -v4
	s_waitcnt lgkmcnt(3)
	v_mul_f32_e32 v21, v23, v9
	v_mul_f32_e32 v4, v23, v8
	v_fmac_f32_e32 v21, v22, v8
	v_fma_f32 v8, v22, v9, -v4
	v_mul_f32_e32 v22, v17, v7
	v_mul_f32_e32 v4, v17, v6
	v_fmac_f32_e32 v22, v16, v6
	v_fma_f32 v16, v16, v7, -v4
	v_mul_f32_e32 v4, v19, v10
	v_mul_f32_e32 v17, v19, v11
	v_fma_f32 v11, v18, v11, -v4
	s_waitcnt lgkmcnt(1)
	v_mul_f32_e32 v19, v29, v82
	v_mul_f32_e32 v4, v29, v81
	v_fmac_f32_e32 v19, v28, v81
	v_fma_f32 v23, v28, v82, -v4
	s_waitcnt lgkmcnt(0)
	v_mul_f32_e32 v28, v31, v86
	v_mul_f32_e32 v4, v31, v85
	v_fmac_f32_e32 v28, v30, v85
	v_fma_f32 v29, v30, v86, -v4
	v_mul_f32_e32 v30, v25, v84
	v_mul_f32_e32 v4, v25, v83
	v_fmac_f32_e32 v30, v24, v83
	v_fma_f32 v24, v24, v84, -v4
	v_mul_f32_e32 v25, v27, v88
	v_mul_f32_e32 v4, v27, v87
	v_add_f32_e32 v5, v73, v21
	v_fmac_f32_e32 v25, v26, v87
	v_fma_f32 v26, v26, v88, -v4
	v_add_f32_e32 v4, v0, v73
	v_fma_f32 v0, -0.5, v5, v0
	v_sub_f32_e32 v5, v20, v8
	v_mov_b32_e32 v6, v0
	v_add_f32_e32 v7, v20, v8
	v_fmac_f32_e32 v17, v18, v10
	v_fmac_f32_e32 v6, 0xbf5db3d7, v5
	;; [unrolled: 1-line block ×3, first 2 shown]
	v_add_f32_e32 v5, v1, v20
	v_fma_f32 v1, -0.5, v7, v1
	v_add_f32_e32 v5, v5, v8
	v_sub_f32_e32 v8, v73, v21
	v_mov_b32_e32 v7, v1
	v_add_f32_e32 v9, v22, v17
	v_fmac_f32_e32 v7, 0x3f5db3d7, v8
	v_fmac_f32_e32 v1, 0xbf5db3d7, v8
	v_add_f32_e32 v8, v2, v22
	v_fma_f32 v2, -0.5, v9, v2
	v_sub_f32_e32 v9, v16, v11
	v_mov_b32_e32 v10, v2
	v_fmac_f32_e32 v10, 0xbf5db3d7, v9
	v_fmac_f32_e32 v2, 0x3f5db3d7, v9
	v_add_f32_e32 v9, v3, v16
	v_add_f32_e32 v9, v9, v11
	;; [unrolled: 1-line block ×3, first 2 shown]
	v_fmac_f32_e32 v3, -0.5, v11
	v_add_f32_e32 v8, v8, v17
	v_sub_f32_e32 v16, v22, v17
	v_mov_b32_e32 v11, v3
	v_add_f32_e32 v17, v19, v28
	v_fmac_f32_e32 v11, 0x3f5db3d7, v16
	v_fmac_f32_e32 v3, 0xbf5db3d7, v16
	v_add_f32_e32 v16, v12, v19
	v_fma_f32 v12, -0.5, v17, v12
	v_sub_f32_e32 v17, v23, v29
	v_mov_b32_e32 v18, v12
	v_add_f32_e32 v20, v23, v29
	v_fmac_f32_e32 v18, 0xbf5db3d7, v17
	v_fmac_f32_e32 v12, 0x3f5db3d7, v17
	v_add_f32_e32 v17, v13, v23
	v_fma_f32 v13, -0.5, v20, v13
	v_add_f32_e32 v4, v4, v21
	v_sub_f32_e32 v20, v19, v28
	v_mov_b32_e32 v19, v13
	v_add_f32_e32 v21, v30, v25
	v_fmac_f32_e32 v19, 0x3f5db3d7, v20
	v_fmac_f32_e32 v13, 0xbf5db3d7, v20
	v_add_f32_e32 v20, v14, v30
	v_fma_f32 v14, -0.5, v21, v14
	v_sub_f32_e32 v21, v24, v26
	v_mov_b32_e32 v22, v14
	v_add_f32_e32 v23, v24, v26
	v_fmac_f32_e32 v22, 0xbf5db3d7, v21
	v_fmac_f32_e32 v14, 0x3f5db3d7, v21
	v_add_f32_e32 v21, v15, v24
	v_fmac_f32_e32 v15, -0.5, v23
	v_sub_f32_e32 v24, v30, v25
	v_mov_b32_e32 v23, v15
	v_add_f32_e32 v16, v16, v28
	v_add_f32_e32 v17, v17, v29
	;; [unrolled: 1-line block ×4, first 2 shown]
	v_fmac_f32_e32 v23, 0x3f5db3d7, v24
	v_fmac_f32_e32 v15, 0xbf5db3d7, v24
	s_waitcnt lgkmcnt(0)
	; wave barrier
	ds_write2_b64 v153, v[4:5], v[6:7] offset1:12
	ds_write_b64 v153, v[0:1] offset:192
	ds_write2_b64 v154, v[8:9], v[10:11] offset1:12
	ds_write_b64 v154, v[2:3] offset:192
	;; [unrolled: 2-line block ×4, first 2 shown]
	s_waitcnt lgkmcnt(0)
	; wave barrier
	s_waitcnt lgkmcnt(0)
	ds_read2_b64 v[10:13], v133 offset1:63
	ds_read2_b64 v[4:7], v79 offset0:124 offset1:187
	ds_read2_b64 v[14:17], v78 offset0:120 offset1:183
	;; [unrolled: 1-line block ×5, first 2 shown]
	s_waitcnt lgkmcnt(4)
	v_mul_f32_e32 v8, v37, v5
	v_fmac_f32_e32 v8, v36, v4
	v_mul_f32_e32 v4, v37, v4
	v_fma_f32 v4, v36, v5, -v4
	s_waitcnt lgkmcnt(3)
	v_mul_f32_e32 v5, v39, v15
	v_fmac_f32_e32 v5, v38, v14
	v_mul_f32_e32 v9, v39, v14
	v_mul_f32_e32 v14, v35, v16
	;; [unrolled: 1-line block ×3, first 2 shown]
	v_fma_f32 v27, v34, v17, -v14
	s_waitcnt lgkmcnt(1)
	v_mul_f32_e32 v14, v41, v18
	v_fmac_f32_e32 v26, v32, v6
	v_mul_f32_e32 v6, v33, v6
	v_fma_f32 v29, v40, v19, -v14
	s_waitcnt lgkmcnt(0)
	v_mul_f32_e32 v14, v43, v22
	v_fma_f32 v9, v38, v15, -v9
	v_fma_f32 v6, v32, v7, -v6
	v_mul_f32_e32 v7, v35, v17
	v_fma_f32 v31, v42, v23, -v14
	v_mul_f32_e32 v14, v45, v20
	v_add_f32_e32 v15, v8, v5
	v_fmac_f32_e32 v7, v34, v16
	v_mul_f32_e32 v28, v41, v19
	v_fma_f32 v33, v44, v21, -v14
	v_mul_f32_e32 v14, v47, v24
	v_fma_f32 v16, -0.5, v15, v10
	v_fmac_f32_e32 v28, v40, v18
	v_fma_f32 v35, v46, v25, -v14
	v_add_f32_e32 v14, v10, v8
	v_sub_f32_e32 v10, v4, v9
	v_mov_b32_e32 v18, v16
	v_fmac_f32_e32 v18, 0xbf5db3d7, v10
	v_fmac_f32_e32 v16, 0x3f5db3d7, v10
	v_add_f32_e32 v10, v11, v4
	v_add_f32_e32 v4, v4, v9
	v_fma_f32 v17, -0.5, v4, v11
	v_sub_f32_e32 v4, v8, v5
	v_mov_b32_e32 v19, v17
	v_mul_f32_e32 v32, v45, v21
	v_fmac_f32_e32 v19, 0x3f5db3d7, v4
	v_fmac_f32_e32 v17, 0xbf5db3d7, v4
	v_add_f32_e32 v4, v12, v26
	v_fmac_f32_e32 v32, v44, v20
	v_add_f32_e32 v20, v4, v7
	v_add_f32_e32 v4, v26, v7
	v_mul_f32_e32 v30, v43, v23
	v_fma_f32 v12, -0.5, v4, v12
	v_fmac_f32_e32 v30, v42, v22
	v_sub_f32_e32 v4, v6, v27
	v_mov_b32_e32 v22, v12
	v_fmac_f32_e32 v22, 0xbf5db3d7, v4
	v_fmac_f32_e32 v12, 0x3f5db3d7, v4
	v_add_f32_e32 v4, v13, v6
	v_add_f32_e32 v21, v4, v27
	;; [unrolled: 1-line block ×3, first 2 shown]
	v_fmac_f32_e32 v13, -0.5, v4
	v_sub_f32_e32 v4, v26, v7
	v_mov_b32_e32 v23, v13
	v_mul_f32_e32 v34, v47, v25
	v_fmac_f32_e32 v23, 0x3f5db3d7, v4
	v_fmac_f32_e32 v13, 0xbf5db3d7, v4
	v_add_f32_e32 v4, v0, v28
	v_fmac_f32_e32 v34, v46, v24
	v_add_f32_e32 v24, v4, v30
	v_add_f32_e32 v4, v28, v30
	v_fma_f32 v6, -0.5, v4, v0
	v_sub_f32_e32 v0, v29, v31
	v_mov_b32_e32 v4, v6
	v_fmac_f32_e32 v4, 0xbf5db3d7, v0
	v_fmac_f32_e32 v6, 0x3f5db3d7, v0
	v_add_f32_e32 v0, v1, v29
	v_add_f32_e32 v25, v0, v31
	;; [unrolled: 1-line block ×3, first 2 shown]
	v_fma_f32 v7, -0.5, v0, v1
	v_add_f32_e32 v14, v14, v5
	v_sub_f32_e32 v0, v28, v30
	v_mov_b32_e32 v5, v7
	v_fmac_f32_e32 v5, 0x3f5db3d7, v0
	v_fmac_f32_e32 v7, 0xbf5db3d7, v0
	v_add_f32_e32 v0, v2, v32
	v_add_f32_e32 v8, v0, v34
	;; [unrolled: 1-line block ×3, first 2 shown]
	v_fma_f32 v2, -0.5, v0, v2
	v_add_f32_e32 v15, v10, v9
	v_sub_f32_e32 v0, v33, v35
	v_mov_b32_e32 v10, v2
	v_fmac_f32_e32 v10, 0xbf5db3d7, v0
	v_fmac_f32_e32 v2, 0x3f5db3d7, v0
	v_add_f32_e32 v0, v3, v33
	v_add_f32_e32 v9, v0, v35
	;; [unrolled: 1-line block ×3, first 2 shown]
	v_fmac_f32_e32 v3, -0.5, v0
	v_sub_f32_e32 v0, v32, v34
	v_mov_b32_e32 v11, v3
	v_fmac_f32_e32 v11, 0x3f5db3d7, v0
	v_fmac_f32_e32 v3, 0xbf5db3d7, v0
	s_waitcnt lgkmcnt(0)
	; wave barrier
	ds_write2_b64 v157, v[14:15], v[18:19] offset1:36
	ds_write_b64 v157, v[16:17] offset:576
	ds_write2_b64 v159, v[20:21], v[22:23] offset1:36
	ds_write_b64 v159, v[12:13] offset:576
	;; [unrolled: 2-line block ×4, first 2 shown]
	s_waitcnt lgkmcnt(0)
	; wave barrier
	s_waitcnt lgkmcnt(0)
	ds_read2_b64 v[12:15], v133 offset1:108
	ds_read2_b64 v[20:23], v79 offset0:88 offset1:196
	ds_read2_b64 v[16:19], v78 offset0:48 offset1:156
	ds_read_b64 v[0:1], v133 offset:5184
	s_and_saveexec_b64 s[4:5], s[0:1]
	s_cbranch_execz .LBB0_7
; %bb.6:
	ds_read2_b64 v[4:7], v133 offset0:63 offset1:171
	ds_read2_b64 v[72:75], v78 offset0:111 offset1:219
	;; [unrolled: 1-line block ×3, first 2 shown]
	ds_read_b64 v[76:77], v133 offset:5688
	s_waitcnt lgkmcnt(2)
	v_mov_b32_e32 v2, v72
	v_mov_b32_e32 v3, v73
.LBB0_7:
	s_or_b64 exec, exec, s[4:5]
	s_waitcnt lgkmcnt(3)
	v_mul_f32_e32 v24, v65, v15
	v_fmac_f32_e32 v24, v64, v14
	v_mul_f32_e32 v14, v65, v14
	v_fma_f32 v14, v64, v15, -v14
	s_waitcnt lgkmcnt(2)
	v_mul_f32_e32 v15, v67, v21
	v_fmac_f32_e32 v15, v66, v20
	v_mul_f32_e32 v20, v67, v20
	v_fma_f32 v20, v66, v21, -v20
	v_mul_f32_e32 v21, v61, v23
	v_fmac_f32_e32 v21, v60, v22
	v_mul_f32_e32 v22, v61, v22
	v_fma_f32 v22, v60, v23, -v22
	s_waitcnt lgkmcnt(1)
	v_mul_f32_e32 v23, v63, v17
	v_fmac_f32_e32 v23, v62, v16
	v_mul_f32_e32 v16, v63, v16
	v_fma_f32 v16, v62, v17, -v16
	;; [unrolled: 9-line block ×3, first 2 shown]
	v_add_f32_e32 v1, v24, v19
	v_add_f32_e32 v25, v14, v0
	v_sub_f32_e32 v0, v14, v0
	v_add_f32_e32 v14, v15, v17
	v_sub_f32_e32 v19, v24, v19
	;; [unrolled: 2-line block ×3, first 2 shown]
	v_sub_f32_e32 v17, v20, v18
	v_add_f32_e32 v18, v21, v23
	v_add_f32_e32 v20, v22, v16
	v_sub_f32_e32 v16, v16, v22
	v_add_f32_e32 v22, v14, v1
	v_sub_f32_e32 v21, v23, v21
	;; [unrolled: 2-line block ×3, first 2 shown]
	v_sub_f32_e32 v28, v1, v18
	v_sub_f32_e32 v14, v18, v14
	v_add_f32_e32 v29, v16, v17
	v_add_f32_e32 v18, v18, v22
	v_sub_f32_e32 v27, v24, v25
	v_sub_f32_e32 v25, v25, v20
	v_sub_f32_e32 v24, v20, v24
	v_add_f32_e32 v1, v21, v15
	v_sub_f32_e32 v31, v16, v17
	v_sub_f32_e32 v16, v0, v16
	;; [unrolled: 1-line block ×3, first 2 shown]
	v_add_f32_e32 v20, v20, v23
	v_add_f32_e32 v22, v29, v0
	;; [unrolled: 1-line block ×3, first 2 shown]
	v_sub_f32_e32 v30, v21, v15
	v_sub_f32_e32 v21, v19, v21
	;; [unrolled: 1-line block ×3, first 2 shown]
	v_add_f32_e32 v19, v1, v19
	v_add_f32_e32 v1, v13, v20
	v_mov_b32_e32 v32, v0
	v_mul_f32_e32 v12, 0x3f4a47b2, v28
	v_mul_f32_e32 v13, 0x3f4a47b2, v25
	;; [unrolled: 1-line block ×6, first 2 shown]
	s_mov_b32 s6, 0xbf5ff5aa
	v_fmac_f32_e32 v32, 0xbf955555, v18
	v_mov_b32_e32 v18, v1
	s_mov_b32 s7, 0x3f3bfb3b
	s_mov_b32 s12, 0xbf3bfb3b
	v_mul_f32_e32 v30, 0xbf5ff5aa, v15
	v_mul_f32_e32 v31, 0xbf5ff5aa, v17
	v_fmac_f32_e32 v18, 0xbf955555, v20
	v_fma_f32 v20, v26, s7, -v23
	v_fma_f32 v23, v27, s7, -v25
	;; [unrolled: 1-line block ×3, first 2 shown]
	v_fmac_f32_e32 v12, 0x3d64c772, v14
	v_fma_f32 v14, v27, s12, -v13
	v_fmac_f32_e32 v13, 0x3d64c772, v24
	v_fma_f32 v24, v15, s6, -v28
	v_fmac_f32_e32 v28, 0xbeae86e6, v21
	v_fma_f32 v26, v17, s6, -v29
	v_fmac_f32_e32 v29, 0xbeae86e6, v16
	s_mov_b32 s13, 0x3eae86e6
	v_fma_f32 v21, v21, s13, -v30
	v_fma_f32 v27, v16, s13, -v31
	v_add_f32_e32 v30, v12, v32
	v_add_f32_e32 v31, v13, v18
	v_fmac_f32_e32 v28, 0xbee1c552, v19
	v_fmac_f32_e32 v29, 0xbee1c552, v22
	v_add_f32_e32 v20, v20, v32
	v_add_f32_e32 v23, v23, v18
	;; [unrolled: 1-line block ×4, first 2 shown]
	v_fmac_f32_e32 v24, 0xbee1c552, v19
	v_fmac_f32_e32 v26, 0xbee1c552, v22
	;; [unrolled: 1-line block ×4, first 2 shown]
	v_add_f32_e32 v12, v29, v30
	v_sub_f32_e32 v13, v31, v28
	v_add_f32_e32 v14, v27, v25
	v_sub_f32_e32 v15, v32, v21
	v_sub_f32_e32 v16, v20, v26
	v_add_f32_e32 v17, v24, v23
	v_add_f32_e32 v18, v26, v20
	v_sub_f32_e32 v19, v23, v24
	v_sub_f32_e32 v20, v25, v27
	v_add_f32_e32 v21, v21, v32
	v_sub_f32_e32 v22, v30, v29
	v_add_f32_e32 v23, v28, v31
	ds_write2_b64 v133, v[0:1], v[12:13] offset1:108
	ds_write2_b64 v79, v[14:15], v[16:17] offset0:88 offset1:196
	ds_write2_b64 v78, v[18:19], v[20:21] offset0:48 offset1:156
	ds_write_b64 v133, v[22:23] offset:5184
	s_and_saveexec_b64 s[4:5], s[0:1]
	s_cbranch_execz .LBB0_9
; %bb.8:
	v_mul_f32_e32 v0, v49, v7
	v_mul_f32_e32 v12, v55, v77
	;; [unrolled: 1-line block ×6, first 2 shown]
	v_fmac_f32_e32 v0, v48, v6
	v_fmac_f32_e32 v12, v54, v76
	;; [unrolled: 1-line block ×6, first 2 shown]
	v_sub_f32_e32 v13, v0, v12
	v_sub_f32_e32 v1, v14, v15
	;; [unrolled: 1-line block ×5, first 2 shown]
	v_add_f32_e32 v1, v1, v19
	v_add_f32_e32 v22, v1, v13
	v_mul_f32_e32 v1, v55, v76
	v_fma_f32 v23, v54, v77, -v1
	v_mul_f32_e32 v1, v49, v6
	v_fma_f32 v6, v48, v7, -v1
	;; [unrolled: 2-line block ×4, first 2 shown]
	v_add_f32_e32 v7, v23, v6
	v_add_f32_e32 v1, v2, v10
	v_sub_f32_e32 v3, v7, v1
	v_mul_f32_e32 v11, 0x3f4a47b2, v3
	v_mul_f32_e32 v3, v53, v74
	v_fma_f32 v24, v52, v75, -v3
	v_mul_f32_e32 v3, v51, v8
	v_fma_f32 v8, v50, v9, -v3
	v_add_f32_e32 v9, v24, v8
	v_sub_f32_e32 v3, v1, v9
	v_mov_b32_e32 v26, v11
	v_mul_f32_e32 v25, 0x3d64c772, v3
	v_fmac_f32_e32 v26, 0x3d64c772, v3
	v_add_f32_e32 v3, v9, v7
	v_add_f32_e32 v3, v1, v3
	;; [unrolled: 1-line block ×5, first 2 shown]
	v_sub_f32_e32 v5, v12, v0
	v_mul_f32_e32 v14, 0x3f4a47b2, v5
	v_add_f32_e32 v15, v18, v17
	v_sub_f32_e32 v5, v0, v15
	v_mov_b32_e32 v18, v14
	v_mul_f32_e32 v17, 0x3d64c772, v5
	v_fmac_f32_e32 v18, 0x3d64c772, v5
	v_add_f32_e32 v5, v15, v12
	v_add_f32_e32 v5, v0, v5
	;; [unrolled: 1-line block ×3, first 2 shown]
	v_mov_b32_e32 v28, v0
	v_sub_f32_e32 v2, v2, v10
	v_sub_f32_e32 v8, v8, v24
	v_fmac_f32_e32 v28, 0xbf955555, v5
	v_sub_f32_e32 v4, v6, v23
	v_sub_f32_e32 v5, v2, v8
	;; [unrolled: 1-line block ×3, first 2 shown]
	v_mul_f32_e32 v10, 0x3f08b237, v5
	v_add_f32_e32 v2, v2, v8
	v_sub_f32_e32 v8, v8, v4
	v_mul_f32_e32 v20, 0x3f08b237, v20
	v_mov_b32_e32 v27, v1
	v_mov_b32_e32 v23, v10
	v_add_f32_e32 v24, v2, v4
	v_sub_f32_e32 v7, v9, v7
	v_sub_f32_e32 v9, v15, v12
	v_mul_f32_e32 v4, 0xbf5ff5aa, v8
	v_mov_b32_e32 v21, v20
	v_fmac_f32_e32 v27, 0xbf955555, v3
	v_fmac_f32_e32 v23, 0xbeae86e6, v6
	v_sub_f32_e32 v13, v19, v13
	v_fma_f32 v12, v9, s12, -v14
	v_fma_f32 v14, v6, s13, -v4
	;; [unrolled: 1-line block ×3, first 2 shown]
	v_fmac_f32_e32 v21, 0xbeae86e6, v16
	v_mul_f32_e32 v5, 0xbf5ff5aa, v13
	v_add_f32_e32 v15, v6, v27
	v_fma_f32 v13, v13, s6, -v20
	v_fma_f32 v8, v8, s6, -v10
	;; [unrolled: 1-line block ×3, first 2 shown]
	v_fmac_f32_e32 v21, 0xbee1c552, v22
	v_add_f32_e32 v26, v26, v27
	v_add_f32_e32 v18, v18, v28
	v_fmac_f32_e32 v23, 0xbee1c552, v24
	v_fma_f32 v16, v16, s13, -v5
	v_fma_f32 v5, v7, s12, -v11
	v_add_f32_e32 v12, v12, v28
	v_fmac_f32_e32 v14, 0xbee1c552, v24
	v_fmac_f32_e32 v13, 0xbee1c552, v22
	;; [unrolled: 1-line block ×3, first 2 shown]
	v_add_f32_e32 v10, v6, v28
	v_fmac_f32_e32 v16, 0xbee1c552, v22
	v_add_f32_e32 v11, v5, v27
	v_sub_f32_e32 v4, v12, v14
	v_sub_f32_e32 v7, v15, v13
	v_add_f32_e32 v6, v8, v10
	v_add_f32_e32 v9, v13, v15
	v_sub_f32_e32 v8, v10, v8
	v_add_f32_e32 v10, v14, v12
	v_sub_f32_e32 v13, v26, v21
	v_add_f32_e32 v12, v23, v18
	v_add_f32_e32 v5, v16, v11
	v_sub_f32_e32 v11, v11, v16
	ds_write2_b64 v133, v[0:1], v[12:13] offset0:63 offset1:171
	v_add_u32_e32 v0, 0x800, v133
	ds_write2_b64 v0, v[10:11], v[8:9] offset0:23 offset1:131
	v_add_u32_e32 v0, 0xc00, v133
	v_add_f32_e32 v3, v21, v26
	v_sub_f32_e32 v2, v18, v23
	ds_write2_b64 v0, v[6:7], v[4:5] offset0:111 offset1:219
	ds_write_b64 v133, v[2:3] offset:5688
.LBB0_9:
	s_or_b64 exec, exec, s[4:5]
	s_waitcnt lgkmcnt(0)
	; wave barrier
	s_waitcnt lgkmcnt(0)
	ds_read2_b64 v[0:3], v133 offset1:63
	v_mad_u64_u32 v[8:9], s[0:1], s10, v110, 0
	s_mov_b32 s0, 0x6b015ac0
	s_mov_b32 s1, 0x3f55ac05
	s_waitcnt lgkmcnt(0)
	v_mul_f32_e32 v5, v122, v1
	v_fmac_f32_e32 v5, v121, v0
	v_cvt_f64_f32_e32 v[5:6], v5
	v_mul_f32_e32 v0, v122, v0
	v_fma_f32 v0, v121, v1, -v0
	v_cvt_f64_f32_e32 v[0:1], v0
	v_mul_f64 v[5:6], v[5:6], s[0:1]
	v_mov_b32_e32 v4, v9
	v_mov_b32_e32 v14, s3
	v_mul_f64 v[0:1], v[0:1], s[0:1]
	s_mul_hi_u32 s3, s8, 0xbd0
	v_mad_u64_u32 v[9:10], s[4:5], s11, v110, v[4:5]
	v_mad_u64_u32 v[10:11], s[4:5], s8, v134, 0
	v_cvt_f32_f64_e32 v13, v[0:1]
	v_cvt_f32_f64_e32 v12, v[5:6]
	v_mov_b32_e32 v0, v11
	v_mad_u64_u32 v[0:1], s[4:5], s9, v134, v[0:1]
	v_add_u32_e32 v1, 0x800, v133
	ds_read2_b64 v[4:7], v1 offset0:122 offset1:185
	v_mov_b32_e32 v11, v0
	v_lshlrev_b64 v[0:1], 3, v[8:9]
	s_mul_hi_u32 s5, s8, 0xfffff628
	v_add_co_u32_e32 v15, vcc, s2, v0
	s_waitcnt lgkmcnt(0)
	v_mul_f32_e32 v8, v120, v5
	v_fmac_f32_e32 v8, v119, v4
	v_mul_f32_e32 v4, v120, v4
	v_fma_f32 v4, v119, v5, -v4
	v_cvt_f64_f32_e32 v[8:9], v8
	v_cvt_f64_f32_e32 v[4:5], v4
	v_addc_co_u32_e32 v14, vcc, v14, v1, vcc
	v_mul_f64 v[0:1], v[8:9], s[0:1]
	v_mul_f64 v[4:5], v[4:5], s[0:1]
	v_lshlrev_b64 v[8:9], 3, v[10:11]
	s_mul_i32 s2, s9, 0xbd0
	v_add_co_u32_e32 v8, vcc, v15, v8
	v_addc_co_u32_e32 v9, vcc, v14, v9, vcc
	v_cvt_f32_f64_e32 v0, v[0:1]
	v_cvt_f32_f64_e32 v1, v[4:5]
	v_mul_f32_e32 v4, v116, v3
	v_fmac_f32_e32 v4, v115, v2
	v_mul_f32_e32 v2, v116, v2
	v_fma_f32 v2, v115, v3, -v2
	v_cvt_f64_f32_e32 v[4:5], v4
	v_cvt_f64_f32_e32 v[2:3], v2
	s_add_i32 s2, s3, s2
	s_mul_i32 s3, s8, 0xbd0
	v_mul_f64 v[4:5], v[4:5], s[0:1]
	v_mul_f64 v[2:3], v[2:3], s[0:1]
	global_store_dwordx2 v[8:9], v[12:13], off
	v_mov_b32_e32 v10, s2
	v_add_co_u32_e32 v8, vcc, s3, v8
	v_addc_co_u32_e32 v9, vcc, v9, v10, vcc
	global_store_dwordx2 v[8:9], v[0:1], off
	v_cvt_f32_f64_e32 v4, v[4:5]
	v_cvt_f32_f64_e32 v5, v[2:3]
	v_mul_f32_e32 v0, v114, v7
	v_mul_f32_e32 v2, v114, v6
	v_fmac_f32_e32 v0, v113, v6
	v_fma_f32 v2, v113, v7, -v2
	v_cvt_f64_f32_e32 v[0:1], v0
	v_cvt_f64_f32_e32 v[2:3], v2
	s_mul_i32 s4, s9, 0xfffff628
	s_sub_i32 s5, s5, s8
	v_mul_f64 v[6:7], v[0:1], s[0:1]
	v_mul_f64 v[10:11], v[2:3], s[0:1]
	ds_read2_b64 v[0:3], v133 offset0:126 offset1:189
	s_add_i32 s4, s5, s4
	s_mul_i32 s5, s8, 0xfffff628
	v_mov_b32_e32 v12, s4
	v_add_co_u32_e32 v8, vcc, s5, v8
	v_addc_co_u32_e32 v9, vcc, v9, v12, vcc
	global_store_dwordx2 v[8:9], v[4:5], off
	s_waitcnt lgkmcnt(0)
	v_mul_f32_e32 v4, v118, v1
	v_fmac_f32_e32 v4, v117, v0
	v_cvt_f64_f32_e32 v[4:5], v4
	v_mul_f32_e32 v0, v118, v0
	v_cvt_f32_f64_e32 v13, v[10:11]
	v_fma_f32 v0, v117, v1, -v0
	v_mul_f64 v[10:11], v[4:5], s[0:1]
	v_cvt_f64_f32_e32 v[0:1], v0
	v_add_u32_e32 v4, 0xc00, v133
	v_cvt_f32_f64_e32 v12, v[6:7]
	ds_read2_b64 v[4:7], v4 offset0:120 offset1:183
	v_mul_f64 v[0:1], v[0:1], s[0:1]
	v_mov_b32_e32 v14, s2
	v_add_co_u32_e32 v8, vcc, s3, v8
	v_cvt_f32_f64_e32 v10, v[10:11]
	s_waitcnt lgkmcnt(0)
	v_mul_f32_e32 v11, v112, v5
	v_fmac_f32_e32 v11, v111, v4
	v_mul_f32_e32 v4, v112, v4
	v_addc_co_u32_e32 v9, vcc, v9, v14, vcc
	v_fma_f32 v4, v111, v5, -v4
	global_store_dwordx2 v[8:9], v[12:13], off
	v_cvt_f64_f32_e32 v[12:13], v11
	v_cvt_f64_f32_e32 v[4:5], v4
	v_cvt_f32_f64_e32 v11, v[0:1]
	v_mov_b32_e32 v14, s4
	v_mul_f64 v[0:1], v[12:13], s[0:1]
	v_mul_f64 v[4:5], v[4:5], s[0:1]
	v_add_co_u32_e32 v8, vcc, s5, v8
	v_addc_co_u32_e32 v9, vcc, v9, v14, vcc
	global_store_dwordx2 v[8:9], v[10:11], off
	v_mul_f32_e32 v10, v109, v3
	v_fmac_f32_e32 v10, v108, v2
	v_cvt_f64_f32_e32 v[10:11], v10
	v_mul_f32_e32 v2, v109, v2
	v_fma_f32 v2, v108, v3, -v2
	v_cvt_f32_f64_e32 v0, v[0:1]
	v_cvt_f32_f64_e32 v1, v[4:5]
	v_mul_f64 v[4:5], v[10:11], s[0:1]
	v_cvt_f64_f32_e32 v[2:3], v2
	v_mov_b32_e32 v12, s2
	v_add_co_u32_e32 v8, vcc, s3, v8
	v_addc_co_u32_e32 v9, vcc, v9, v12, vcc
	global_store_dwordx2 v[8:9], v[0:1], off
	v_mul_f64 v[0:1], v[2:3], s[0:1]
	v_cvt_f32_f64_e32 v4, v[4:5]
	v_mul_f32_e32 v2, v107, v7
	v_mul_f32_e32 v5, v107, v6
	v_fmac_f32_e32 v2, v106, v6
	v_fma_f32 v5, v106, v7, -v5
	v_cvt_f64_f32_e32 v[2:3], v2
	v_cvt_f64_f32_e32 v[6:7], v5
	v_cvt_f32_f64_e32 v5, v[0:1]
	v_mov_b32_e32 v0, s4
	v_add_co_u32_e32 v8, vcc, s5, v8
	v_addc_co_u32_e32 v9, vcc, v9, v0, vcc
	v_add_u32_e32 v0, 0x400, v133
	v_mul_f64 v[10:11], v[2:3], s[0:1]
	v_mul_f64 v[6:7], v[6:7], s[0:1]
	ds_read2_b64 v[0:3], v0 offset0:124 offset1:187
	global_store_dwordx2 v[8:9], v[4:5], off
	v_mov_b32_e32 v14, s2
	v_add_co_u32_e32 v8, vcc, s3, v8
	s_waitcnt lgkmcnt(0)
	v_mul_f32_e32 v4, v105, v1
	v_fmac_f32_e32 v4, v104, v0
	v_mul_f32_e32 v0, v105, v0
	v_cvt_f64_f32_e32 v[12:13], v4
	v_fma_f32 v0, v104, v1, -v0
	v_add_u32_e32 v4, 0x1000, v133
	v_cvt_f32_f64_e32 v10, v[10:11]
	v_cvt_f32_f64_e32 v11, v[6:7]
	v_cvt_f64_f32_e32 v[0:1], v0
	ds_read2_b64 v[4:7], v4 offset0:118 offset1:181
	v_addc_co_u32_e32 v9, vcc, v9, v14, vcc
	global_store_dwordx2 v[8:9], v[10:11], off
	v_mul_f64 v[10:11], v[12:13], s[0:1]
	v_mul_f64 v[0:1], v[0:1], s[0:1]
	s_waitcnt lgkmcnt(0)
	v_mul_f32_e32 v12, v103, v5
	v_fmac_f32_e32 v12, v102, v4
	v_mul_f32_e32 v4, v103, v4
	v_fma_f32 v4, v102, v5, -v4
	v_cvt_f64_f32_e32 v[12:13], v12
	v_cvt_f64_f32_e32 v[4:5], v4
	v_cvt_f32_f64_e32 v10, v[10:11]
	v_cvt_f32_f64_e32 v11, v[0:1]
	v_mul_f64 v[0:1], v[12:13], s[0:1]
	v_mul_f64 v[4:5], v[4:5], s[0:1]
	v_mov_b32_e32 v12, s4
	v_add_co_u32_e32 v8, vcc, s5, v8
	v_addc_co_u32_e32 v9, vcc, v9, v12, vcc
	global_store_dwordx2 v[8:9], v[10:11], off
	v_cvt_f32_f64_e32 v0, v[0:1]
	v_cvt_f32_f64_e32 v1, v[4:5]
	v_mul_f32_e32 v4, v101, v3
	v_fmac_f32_e32 v4, v100, v2
	v_mul_f32_e32 v2, v101, v2
	v_fma_f32 v2, v100, v3, -v2
	v_cvt_f64_f32_e32 v[4:5], v4
	v_cvt_f64_f32_e32 v[2:3], v2
	v_mov_b32_e32 v10, s2
	v_add_co_u32_e32 v8, vcc, s3, v8
	v_addc_co_u32_e32 v9, vcc, v9, v10, vcc
	global_store_dwordx2 v[8:9], v[0:1], off
	v_mul_f64 v[0:1], v[4:5], s[0:1]
	v_mul_f64 v[2:3], v[2:3], s[0:1]
	v_mul_f32_e32 v4, v99, v7
	v_fmac_f32_e32 v4, v98, v6
	v_mul_f32_e32 v6, v99, v6
	v_fma_f32 v6, v98, v7, -v6
	v_cvt_f64_f32_e32 v[4:5], v4
	v_cvt_f64_f32_e32 v[6:7], v6
	v_cvt_f32_f64_e32 v0, v[0:1]
	v_cvt_f32_f64_e32 v1, v[2:3]
	v_mul_f64 v[2:3], v[4:5], s[0:1]
	v_mul_f64 v[4:5], v[6:7], s[0:1]
	v_mov_b32_e32 v7, s4
	v_add_co_u32_e32 v6, vcc, s5, v8
	v_addc_co_u32_e32 v7, vcc, v9, v7, vcc
	global_store_dwordx2 v[6:7], v[0:1], off
	v_cvt_f32_f64_e32 v0, v[2:3]
	v_cvt_f32_f64_e32 v1, v[4:5]
	v_mov_b32_e32 v3, s2
	v_add_co_u32_e32 v2, vcc, s3, v6
	v_addc_co_u32_e32 v3, vcc, v7, v3, vcc
	global_store_dwordx2 v[2:3], v[0:1], off
.LBB0_10:
	s_endpgm
	.section	.rodata,"a",@progbits
	.p2align	6, 0x0
	.amdhsa_kernel bluestein_single_fwd_len756_dim1_sp_op_CI_CI
		.amdhsa_group_segment_fixed_size 6048
		.amdhsa_private_segment_fixed_size 0
		.amdhsa_kernarg_size 104
		.amdhsa_user_sgpr_count 6
		.amdhsa_user_sgpr_private_segment_buffer 1
		.amdhsa_user_sgpr_dispatch_ptr 0
		.amdhsa_user_sgpr_queue_ptr 0
		.amdhsa_user_sgpr_kernarg_segment_ptr 1
		.amdhsa_user_sgpr_dispatch_id 0
		.amdhsa_user_sgpr_flat_scratch_init 0
		.amdhsa_user_sgpr_private_segment_size 0
		.amdhsa_uses_dynamic_stack 0
		.amdhsa_system_sgpr_private_segment_wavefront_offset 0
		.amdhsa_system_sgpr_workgroup_id_x 1
		.amdhsa_system_sgpr_workgroup_id_y 0
		.amdhsa_system_sgpr_workgroup_id_z 0
		.amdhsa_system_sgpr_workgroup_info 0
		.amdhsa_system_vgpr_workitem_id 0
		.amdhsa_next_free_vgpr 192
		.amdhsa_next_free_sgpr 20
		.amdhsa_reserve_vcc 1
		.amdhsa_reserve_flat_scratch 0
		.amdhsa_float_round_mode_32 0
		.amdhsa_float_round_mode_16_64 0
		.amdhsa_float_denorm_mode_32 3
		.amdhsa_float_denorm_mode_16_64 3
		.amdhsa_dx10_clamp 1
		.amdhsa_ieee_mode 1
		.amdhsa_fp16_overflow 0
		.amdhsa_exception_fp_ieee_invalid_op 0
		.amdhsa_exception_fp_denorm_src 0
		.amdhsa_exception_fp_ieee_div_zero 0
		.amdhsa_exception_fp_ieee_overflow 0
		.amdhsa_exception_fp_ieee_underflow 0
		.amdhsa_exception_fp_ieee_inexact 0
		.amdhsa_exception_int_div_zero 0
	.end_amdhsa_kernel
	.text
.Lfunc_end0:
	.size	bluestein_single_fwd_len756_dim1_sp_op_CI_CI, .Lfunc_end0-bluestein_single_fwd_len756_dim1_sp_op_CI_CI
                                        ; -- End function
	.section	.AMDGPU.csdata,"",@progbits
; Kernel info:
; codeLenInByte = 11584
; NumSgprs: 24
; NumVgprs: 192
; ScratchSize: 0
; MemoryBound: 0
; FloatMode: 240
; IeeeMode: 1
; LDSByteSize: 6048 bytes/workgroup (compile time only)
; SGPRBlocks: 2
; VGPRBlocks: 47
; NumSGPRsForWavesPerEU: 24
; NumVGPRsForWavesPerEU: 192
; Occupancy: 1
; WaveLimiterHint : 1
; COMPUTE_PGM_RSRC2:SCRATCH_EN: 0
; COMPUTE_PGM_RSRC2:USER_SGPR: 6
; COMPUTE_PGM_RSRC2:TRAP_HANDLER: 0
; COMPUTE_PGM_RSRC2:TGID_X_EN: 1
; COMPUTE_PGM_RSRC2:TGID_Y_EN: 0
; COMPUTE_PGM_RSRC2:TGID_Z_EN: 0
; COMPUTE_PGM_RSRC2:TIDIG_COMP_CNT: 0
	.type	__hip_cuid_121fdb060653d44f,@object ; @__hip_cuid_121fdb060653d44f
	.section	.bss,"aw",@nobits
	.globl	__hip_cuid_121fdb060653d44f
__hip_cuid_121fdb060653d44f:
	.byte	0                               ; 0x0
	.size	__hip_cuid_121fdb060653d44f, 1

	.ident	"AMD clang version 19.0.0git (https://github.com/RadeonOpenCompute/llvm-project roc-6.4.0 25133 c7fe45cf4b819c5991fe208aaa96edf142730f1d)"
	.section	".note.GNU-stack","",@progbits
	.addrsig
	.addrsig_sym __hip_cuid_121fdb060653d44f
	.amdgpu_metadata
---
amdhsa.kernels:
  - .args:
      - .actual_access:  read_only
        .address_space:  global
        .offset:         0
        .size:           8
        .value_kind:     global_buffer
      - .actual_access:  read_only
        .address_space:  global
        .offset:         8
        .size:           8
        .value_kind:     global_buffer
      - .actual_access:  read_only
        .address_space:  global
        .offset:         16
        .size:           8
        .value_kind:     global_buffer
      - .actual_access:  read_only
        .address_space:  global
        .offset:         24
        .size:           8
        .value_kind:     global_buffer
      - .actual_access:  read_only
        .address_space:  global
        .offset:         32
        .size:           8
        .value_kind:     global_buffer
      - .offset:         40
        .size:           8
        .value_kind:     by_value
      - .address_space:  global
        .offset:         48
        .size:           8
        .value_kind:     global_buffer
      - .address_space:  global
        .offset:         56
        .size:           8
        .value_kind:     global_buffer
      - .address_space:  global
        .offset:         64
        .size:           8
        .value_kind:     global_buffer
      - .address_space:  global
        .offset:         72
        .size:           8
        .value_kind:     global_buffer
      - .offset:         80
        .size:           4
        .value_kind:     by_value
      - .address_space:  global
        .offset:         88
        .size:           8
        .value_kind:     global_buffer
      - .address_space:  global
        .offset:         96
        .size:           8
        .value_kind:     global_buffer
    .group_segment_fixed_size: 6048
    .kernarg_segment_align: 8
    .kernarg_segment_size: 104
    .language:       OpenCL C
    .language_version:
      - 2
      - 0
    .max_flat_workgroup_size: 63
    .name:           bluestein_single_fwd_len756_dim1_sp_op_CI_CI
    .private_segment_fixed_size: 0
    .sgpr_count:     24
    .sgpr_spill_count: 0
    .symbol:         bluestein_single_fwd_len756_dim1_sp_op_CI_CI.kd
    .uniform_work_group_size: 1
    .uses_dynamic_stack: false
    .vgpr_count:     192
    .vgpr_spill_count: 0
    .wavefront_size: 64
amdhsa.target:   amdgcn-amd-amdhsa--gfx906
amdhsa.version:
  - 1
  - 2
...

	.end_amdgpu_metadata
